;; amdgpu-corpus repo=ROCm/aiter kind=harvested arch=n/a opt=n/a

/root/src/amdgpu-assembly/repos/ROCm__aiter/hsa/gfx950/fmoe/silu/fmoe_fp16_pertokenInt8_g1u0_vs_silu_1tg_ps_32x448.co:	file format elf64-amdgpu

Disassembly of section .text:

0000000000002e00 <_ZN5aiter49fmoe_fp16_pertokenInt8_g1u0_vs_silu_1tg_ps_32x448E>:
	v_lshrrev_b32_e32 v1, 10, v0                               // 000000002E00: 2002008A
	v_lshrrev_b32_e32 v2, 10, v1                               // 000000002E04: 2004028A
	v_and_b32_e32 v2, 0x3ff, v2                                // 000000002E08: 260404FF 000003FF
	v_and_b32_e32 v1, 0x3ff, v1                                // 000000002E10: 260202FF 000003FF
	v_and_b32_e32 v0, 0x3ff, v0                                // 000000002E18: 260000FF 000003FF
	v_lshrrev_b32_e32 v3, 6, v0                                // 000000002E20: 20060086
	v_and_b32_e32 v0, 63, v0                                   // 000000002E24: 260000BF
	s_mov_b32 s2, s2                                           // 000000002E28: BE820002
	s_mov_b32 s3, s3                                           // 000000002E2C: BE830003
	s_mov_b32 s4, s4                                           // 000000002E30: BE840004
	s_mov_b32 s99, s2                                          // 000000002E34: BEE30002
	v_readfirstlane_b32 s7, v3                                 // 000000002E38: 7E0E0503
	s_and_b32 s1, s1, 0xffff                                   // 000000002E3C: 8601FF01 0000FFFF
	s_mov_b32 s96, 0                                           // 000000002E44: BEE00080
	s_mov_b32 s97, 0                                           // 000000002E48: BEE10080
	s_mov_b32 s100, 0                                          // 000000002E4C: BEE40080
	s_load_dword s96, s[0:1], 0x1a0                            // 000000002E50: C0021800 000001A0
	s_load_dword s97, s[0:1], 0x1b0                            // 000000002E58: C0021840 000001B0
	s_waitcnt lgkmcnt(0)                                       // 000000002E60: BF8CC07F
	s_cmp_eq_u32 s96, 0                                        // 000000002E64: BF068060
	s_cbranch_scc1 label_005C                                  // 000000002E68: BF850041
	v_cvt_f32_u32_e32 v50, s97                                 // 000000002E6C: 7E640C61
	s_sub_i32 s60, 0, s97                                      // 000000002E70: 81BC6180
	v_rcp_iflag_f32_e32 v50, v50                               // 000000002E74: 7E644732
	s_nop 0                                                    // 000000002E78: BF800000
	v_mul_f32_e32 v50, 0x4f7ffffe, v50                         // 000000002E7C: 0A6464FF 4F7FFFFE
	v_cvt_u32_f32_e32 v50, v50                                 // 000000002E84: 7E640F32
	v_mul_lo_u32 v51, s60, v50                                 // 000000002E88: D2850033 0002643C
	v_mul_hi_u32 v51, v50, v51                                 // 000000002E90: D2860033 00026732
	v_add_u32_e32 v50, v50, v51                                // 000000002E98: 68646732
	v_mul_hi_u32 v50, s96, v50                                 // 000000002E9C: D2860032 00026460
	v_mul_lo_u32 v51, v50, s97                                 // 000000002EA4: D2850033 0000C332
	v_sub_u32_e32 v53, s96, v51                                // 000000002EAC: 6A6A6660
	v_add_u32_e32 v52, 1, v50                                  // 000000002EB0: 68686481
	v_cmp_le_u32_e32 vcc, s97, v53                             // 000000002EB4: 7D966A61
	v_subrev_u32_e32 v51, s97, v53                             // 000000002EB8: 6C666A61
	s_nop 0                                                    // 000000002EBC: BF800000
	v_cndmask_b32_e32 v50, v50, v52, vcc                       // 000000002EC0: 00646932
	v_cndmask_b32_e32 v53, v53, v51, vcc                       // 000000002EC4: 006A6735
	v_add_u32_e32 v51, 1, v50                                  // 000000002EC8: 68666481
	v_cmp_le_u32_e32 vcc, s97, v53                             // 000000002ECC: 7D966A61
	s_nop 1                                                    // 000000002ED0: BF800001
	v_cndmask_b32_e32 v53, v50, v51, vcc                       // 000000002ED4: 006A6732
	s_nop 3                                                    // 000000002ED8: BF800003
	v_readfirstlane_b32 s98, v53                               // 000000002EDC: 7EC40535
	s_nop 3                                                    // 000000002EE0: BF800003

0000000000002ee4 <label_0039>:
	s_mov_b32 s4, 0                                            // 000000002EE4: BE840080
	v_cvt_f32_u32_e32 v50, s97                                 // 000000002EE8: 7E640C61
	s_sub_i32 s60, 0, s97                                      // 000000002EEC: 81BC6180
	v_rcp_iflag_f32_e32 v50, v50                               // 000000002EF0: 7E644732
	s_nop 0                                                    // 000000002EF4: BF800000
	v_mul_f32_e32 v50, 0x4f7ffffe, v50                         // 000000002EF8: 0A6464FF 4F7FFFFE
	v_cvt_u32_f32_e32 v50, v50                                 // 000000002F00: 7E640F32
	v_mul_lo_u32 v51, s60, v50                                 // 000000002F04: D2850033 0002643C
	v_mul_hi_u32 v51, v50, v51                                 // 000000002F0C: D2860033 00026732
	v_add_u32_e32 v50, v50, v51                                // 000000002F14: 68646732
	v_mul_hi_u32 v50, s99, v50                                 // 000000002F18: D2860032 00026463
	v_mul_lo_u32 v51, v50, s97                                 // 000000002F20: D2850033 0000C332
	v_sub_u32_e32 v53, s99, v51                                // 000000002F28: 6A6A6663
	v_add_u32_e32 v52, 1, v50                                  // 000000002F2C: 68686481
	v_cmp_le_u32_e32 vcc, s97, v53                             // 000000002F30: 7D966A61
	v_subrev_u32_e32 v51, s97, v53                             // 000000002F34: 6C666A61
	s_nop 0                                                    // 000000002F38: BF800000
	v_cndmask_b32_e32 v50, v50, v52, vcc                       // 000000002F3C: 00646932
	v_cndmask_b32_e32 v53, v53, v51, vcc                       // 000000002F40: 006A6735
	v_add_u32_e32 v51, 1, v50                                  // 000000002F44: 68666481
	v_cmp_le_u32_e32 vcc, s97, v53                             // 000000002F48: 7D966A61
	s_nop 1                                                    // 000000002F4C: BF800001
	v_cndmask_b32_e32 v53, v50, v51, vcc                       // 000000002F50: 006A6732
	s_nop 3                                                    // 000000002F54: BF800003
	v_readfirstlane_b32 s3, v53                                // 000000002F58: 7E060535
	s_nop 3                                                    // 000000002F5C: BF800003
	s_mul_i32 s60, s3, s97                                     // 000000002F60: 923C6103
	s_sub_u32 s2, s99, s60                                     // 000000002F64: 80823C63
	s_mul_i32 s60, s98, s100                                   // 000000002F68: 923C6462
	s_add_i32 s3, s3, s60                                      // 000000002F6C: 81033C03

0000000000002f70 <label_005C>:
	s_and_b32 s1, s1, 0xffff                                   // 000000002F70: 8601FF01 0000FFFF
	s_load_dwordx2 s[8:9], s[0:1], 0x0                         // 000000002F78: C0060200 00000000
	s_load_dwordx2 s[20:21], s[0:1], 0x10                      // 000000002F80: C0060500 00000010
	s_load_dwordx2 s[24:25], s[0:1], 0x20                      // 000000002F88: C0060600 00000020
	s_load_dwordx2 s[50:51], s[0:1], 0x30                      // 000000002F90: C0060C80 00000030
	s_load_dwordx2 s[12:13], s[0:1], 0x40                      // 000000002F98: C0060300 00000040
	s_load_dwordx2 s[28:29], s[0:1], 0x50                      // 000000002FA0: C0060700 00000050
	s_load_dwordx2 s[32:33], s[0:1], 0x60                      // 000000002FA8: C0060800 00000060
	s_load_dwordx2 s[16:17], s[0:1], 0x70                      // 000000002FB0: C0060400 00000070
	s_load_dwordx2 s[36:37], s[0:1], 0x80                      // 000000002FB8: C0060900 00000080
	s_load_dwordx2 s[44:45], s[0:1], 0x90                      // 000000002FC0: C0060B00 00000090
	s_load_dwordx2 s[40:41], s[0:1], 0xa0                      // 000000002FC8: C0060A00 000000A0
	s_load_dwordx2 s[46:47], s[0:1], 0xb0                      // 000000002FD0: C0060B80 000000B0
	s_load_dword s64, s[0:1], 0xc0                             // 000000002FD8: C0021000 000000C0
	s_load_dword s65, s[0:1], 0xd0                             // 000000002FE0: C0021040 000000D0
	s_load_dword s67, s[0:1], 0xf0                             // 000000002FE8: C00210C0 000000F0
	s_load_dword s68, s[0:1], 0x100                            // 000000002FF0: C0021100 00000100
	s_load_dword s69, s[0:1], 0x110                            // 000000002FF8: C0021140 00000110
	s_load_dword s70, s[0:1], 0x120                            // 000000003000: C0021180 00000120
	s_load_dword s71, s[0:1], 0x130                            // 000000003008: C00211C0 00000130
	s_load_dword s72, s[0:1], 0x140                            // 000000003010: C0021200 00000140
	s_load_dword s73, s[0:1], 0x150                            // 000000003018: C0021240 00000150
	s_load_dword s74, s[0:1], 0x160                            // 000000003020: C0021280 00000160
	s_load_dword s75, s[0:1], 0x170                            // 000000003028: C00212C0 00000170
	s_load_dword s76, s[0:1], 0x180                            // 000000003030: C0021300 00000180
	s_load_dword s63, s[0:1], 0x190                            // 000000003038: C0020FC0 00000190
	s_mov_b32 s2, s2                                           // 000000003040: BE820002
	s_mov_b32 s3, s3                                           // 000000003044: BE830003
	s_mov_b32 s4, s4                                           // 000000003048: BE840004
	s_waitcnt lgkmcnt(0)                                       // 00000000304C: BF8CC07F
	s_and_b32 s51, s51, 0xffff                                 // 000000003050: 8633FF33 0000FFFF
	s_load_dword s66, s[50:51], 0x4                            // 000000003058: C0021099 00000004
	s_load_dword s50, s[50:51], 0x0                            // 000000003060: C0020C99 00000000
	s_waitcnt lgkmcnt(0)                                       // 000000003068: BF8CC07F
	s_and_b32 s45, s45, 0xffff                                 // 00000000306C: 862DFF2D 0000FFFF
	s_and_b32 s47, s47, 0xffff                                 // 000000003074: 862FFF2F 0000FFFF
	s_and_b32 s9, s9, 0xffff                                   // 00000000307C: 8609FF09 0000FFFF
	s_mul_i32 s60, s66, s68                                    // 000000003084: 923C4442
	s_mul_i32 s60, s63, s60                                    // 000000003088: 923C3C3F
	s_mul_i32 s61, s66, 4                                      // 00000000308C: 923D8442
	s_mul_i32 s61, s63, s61                                    // 000000003090: 923D3D3F
	s_mov_b32 s22, s60                                         // 000000003094: BE96003C
	s_mov_b32 s26, -16                                         // 000000003098: BE9A00D0
	s_mov_b32 s14, -16                                         // 00000000309C: BE8E00D0
	s_mov_b32 s42, -16                                         // 0000000030A0: BEAA00D0
	s_mov_b32 s30, s61                                         // 0000000030A4: BE9E003D
	s_mov_b32 s34, 0x700                                       // 0000000030A8: BEA200FF 00000700
	s_mov_b32 s38, 0x700                                       // 0000000030B0: BEA600FF 00000700
	s_mov_b32 s18, -16                                         // 0000000030B8: BE9200D0
	s_mov_b32 s23, 0x20000                                     // 0000000030BC: BE9700FF 00020000
	s_mov_b32 s27, 0x20000                                     // 0000000030C4: BE9B00FF 00020000
	s_mov_b32 s15, 0x20000                                     // 0000000030CC: BE8F00FF 00020000
	s_mov_b32 s43, 0x20000                                     // 0000000030D4: BEAB00FF 00020000
	s_mov_b32 s31, 0x20000                                     // 0000000030DC: BE9F00FF 00020000
	s_mov_b32 s35, 0x20000                                     // 0000000030E4: BEA300FF 00020000
	s_mov_b32 s39, 0x20000                                     // 0000000030EC: BEA700FF 00020000
	s_mov_b32 s19, 0x20000                                     // 0000000030F4: BE9300FF 00020000
	s_and_b32 s21, s21, 0xffff                                 // 0000000030FC: 8615FF15 0000FFFF
	s_and_b32 s25, s25, 0xffff                                 // 000000003104: 8619FF19 0000FFFF
	s_and_b32 s13, s13, 0xffff                                 // 00000000310C: 860DFF0D 0000FFFF
	s_and_b32 s41, s41, 0xffff                                 // 000000003114: 8629FF29 0000FFFF
	s_and_b32 s29, s29, 0xffff                                 // 00000000311C: 861DFF1D 0000FFFF
	s_and_b32 s33, s33, 0xffff                                 // 000000003124: 8621FF21 0000FFFF
	s_and_b32 s37, s37, 0xffff                                 // 00000000312C: 8625FF25 0000FFFF
	s_and_b32 s17, s17, 0xffff                                 // 000000003134: 8611FF11 0000FFFF
	s_or_b32 s21, s21, 0x40000                                 // 00000000313C: 8715FF15 00040000
	s_or_b32 s25, s25, 0x40000                                 // 000000003144: 8719FF19 00040000
	s_or_b32 s13, s13, 0x40000                                 // 00000000314C: 870DFF0D 00040000
	s_or_b32 s41, s41, 0x40000                                 // 000000003154: 8729FF29 00040000
	s_or_b32 s29, s29, 0x40000                                 // 00000000315C: 871DFF1D 00040000
	s_or_b32 s33, s33, 0x40000                                 // 000000003164: 8721FF21 00040000
	s_or_b32 s37, s37, 0x40000                                 // 00000000316C: 8725FF25 00040000
	s_or_b32 s17, s17, 0x40000                                 // 000000003174: 8711FF11 00040000
	v_accvgpr_write_b32 a223, 0                                // 00000000317C: D3D940DF 18000080
	v_mov_b32_e32 v247, 0                                      // 000000003184: 7FEE0280
	s_waitcnt lgkmcnt(0)                                       // 000000003188: BF8CC07F
	s_mul_i32 s60, s3, 32                                      // 00000000318C: 923CA003
	s_cmp_lt_i32 s60, s50                                      // 000000003190: BF04323C
	s_cbranch_scc0 label_1C18                                  // 000000003194: BF841B32
	s_mov_b32 s80, 0                                           // 000000003198: BED00080
	s_mov_b32 s81, s64                                         // 00000000319C: BED10040
	s_mul_i32 s60, s3, 4                                       // 0000000031A0: 923C8403
	s_add_u32 s46, s60, s46                                    // 0000000031A4: 802E2E3C
	s_addc_u32 s47, 0, s47                                     // 0000000031A8: 822F2F80
	s_load_dword s5, s[46:47], 0x0                             // 0000000031AC: C0020157 00000000
	s_mul_i32 s60, s3, 32                                      // 0000000031B4: 923CA003
	s_mul_i32 s60, 4, s60                                      // 0000000031B8: 923C3C84
	v_and_b32_e32 v50, 15, v0                                  // 0000000031BC: 2664008F
	v_lshlrev_b32_e32 v50, 2, v50                              // 0000000031C0: 24646482
	v_add_u32_e32 v50, s60, v50                                // 0000000031C4: 6864643C
	v_mov_b32_e32 v51, 0                                       // 0000000031C8: 7E660280
	global_load_dword v6, v50, s[44:45]                        // 0000000031CC: DC508000 062C0032
	v_add_u32_e32 v50, 64, v50                                 // 0000000031D4: 686464C0
	global_load_dword v7, v50, s[44:45]                        // 0000000031D8: DC508000 072C0032
	s_mul_i32 s60, s3, 32                                      // 0000000031E0: 923CA003
	s_add_u32 s60, s7, s60                                     // 0000000031E4: 803C3C07
	s_mul_i32 s60, 4, s60                                      // 0000000031E8: 923C3C84
	s_add_u32 s44, s60, s44                                    // 0000000031EC: 802C2C3C
	s_addc_u32 s45, 0, s45                                     // 0000000031F0: 822D2D80
	s_load_dword s82, s[44:45], 0x0                            // 0000000031F4: C0021496 00000000
	s_load_dword s83, s[44:45], 0x10                           // 0000000031FC: C00214D6 00000010
	s_load_dword s84, s[44:45], 0x20                           // 000000003204: C0021516 00000020
	s_load_dword s85, s[44:45], 0x30                           // 00000000320C: C0021556 00000030
	s_load_dword s86, s[44:45], 0x40                           // 000000003214: C0021596 00000040
	s_load_dword s87, s[44:45], 0x50                           // 00000000321C: C00215D6 00000050
	s_load_dword s88, s[44:45], 0x60                           // 000000003224: C0021616 00000060
	s_load_dword s89, s[44:45], 0x70                           // 00000000322C: C0021656 00000070
	s_waitcnt lgkmcnt(0)                                       // 000000003234: BF8CC07F
	v_lshlrev_b32_e32 v50, 2, v0                               // 000000003238: 24640082
	s_lshr_b32 s61, s82, 24                                    // 00000000323C: 8F3D9852
	s_mul_i32 s61, s61, s68                                    // 000000003240: 923D443D
	s_mul_i32 s61, s61, s66                                    // 000000003244: 923D423D
	s_and_b32 s82, s82, 0xffffff                               // 000000003248: 8652FF52 00FFFFFF
	s_mul_i32 s60, s82, s68                                    // 000000003250: 923C4452
	s_add_u32 s60, s61, s60                                    // 000000003254: 803C3C3D
	v_add_u32_e64 v26, v50, s60                                // 000000003258: D134001A 00007932
	s_lshr_b32 s61, s83, 24                                    // 000000003260: 8F3D9853
	s_mul_i32 s61, s61, s68                                    // 000000003264: 923D443D
	s_mul_i32 s61, s61, s66                                    // 000000003268: 923D423D
	s_and_b32 s83, s83, 0xffffff                               // 00000000326C: 8653FF53 00FFFFFF
	s_mul_i32 s60, s83, s68                                    // 000000003274: 923C4453
	s_add_u32 s60, s61, s60                                    // 000000003278: 803C3C3D
	v_add_u32_e64 v27, v50, s60                                // 00000000327C: D134001B 00007932
	s_lshr_b32 s61, s84, 24                                    // 000000003284: 8F3D9854
	s_mul_i32 s61, s61, s68                                    // 000000003288: 923D443D
	s_mul_i32 s61, s61, s66                                    // 00000000328C: 923D423D
	s_and_b32 s84, s84, 0xffffff                               // 000000003290: 8654FF54 00FFFFFF
	s_mul_i32 s60, s84, s68                                    // 000000003298: 923C4454
	s_add_u32 s60, s61, s60                                    // 00000000329C: 803C3C3D
	v_add_u32_e64 v28, v50, s60                                // 0000000032A0: D134001C 00007932
	s_lshr_b32 s61, s85, 24                                    // 0000000032A8: 8F3D9855
	s_mul_i32 s61, s61, s68                                    // 0000000032AC: 923D443D
	s_mul_i32 s61, s61, s66                                    // 0000000032B0: 923D423D
	s_and_b32 s85, s85, 0xffffff                               // 0000000032B4: 8655FF55 00FFFFFF
	s_mul_i32 s60, s85, s68                                    // 0000000032BC: 923C4455
	s_add_u32 s60, s61, s60                                    // 0000000032C0: 803C3C3D
	v_add_u32_e64 v29, v50, s60                                // 0000000032C4: D134001D 00007932
	s_lshr_b32 s61, s86, 24                                    // 0000000032CC: 8F3D9856
	s_mul_i32 s61, s61, s68                                    // 0000000032D0: 923D443D
	s_mul_i32 s61, s61, s66                                    // 0000000032D4: 923D423D
	s_and_b32 s86, s86, 0xffffff                               // 0000000032D8: 8656FF56 00FFFFFF
	s_mul_i32 s60, s86, s68                                    // 0000000032E0: 923C4456
	s_add_u32 s60, s61, s60                                    // 0000000032E4: 803C3C3D
	v_add_u32_e64 v30, v50, s60                                // 0000000032E8: D134001E 00007932
	s_lshr_b32 s61, s87, 24                                    // 0000000032F0: 8F3D9857
	s_mul_i32 s61, s61, s68                                    // 0000000032F4: 923D443D
	s_mul_i32 s61, s61, s66                                    // 0000000032F8: 923D423D
	s_and_b32 s87, s87, 0xffffff                               // 0000000032FC: 8657FF57 00FFFFFF
	s_mul_i32 s60, s87, s68                                    // 000000003304: 923C4457
	s_add_u32 s60, s61, s60                                    // 000000003308: 803C3C3D
	v_add_u32_e64 v31, v50, s60                                // 00000000330C: D134001F 00007932
	s_lshr_b32 s61, s88, 24                                    // 000000003314: 8F3D9858
	s_mul_i32 s61, s61, s68                                    // 000000003318: 923D443D
	s_mul_i32 s61, s61, s66                                    // 00000000331C: 923D423D
	s_and_b32 s88, s88, 0xffffff                               // 000000003320: 8658FF58 00FFFFFF
	s_mul_i32 s60, s88, s68                                    // 000000003328: 923C4458
	s_add_u32 s60, s61, s60                                    // 00000000332C: 803C3C3D
	v_add_u32_e64 v32, v50, s60                                // 000000003330: D1340020 00007932
	s_lshr_b32 s61, s89, 24                                    // 000000003338: 8F3D9859
	s_mul_i32 s61, s61, s68                                    // 00000000333C: 923D443D
	s_mul_i32 s61, s61, s66                                    // 000000003340: 923D423D
	s_and_b32 s89, s89, 0xffffff                               // 000000003344: 8659FF59 00FFFFFF
	s_mul_i32 s60, s89, s68                                    // 00000000334C: 923C4459
	s_add_u32 s60, s61, s60                                    // 000000003350: 803C3C3D
	v_add_u32_e64 v33, v50, s60                                // 000000003354: D1340021 00007932
	v_lshlrev_b32_e32 v50, 2, v0                               // 00000000335C: 24640082
	s_mul_i32 s60, s82, s71                                    // 000000003360: 923C4752
	v_add_u32_e64 v80, v50, s60                                // 000000003364: D1340050 00007932
	v_mov_b32_e32 v81, 0                                       // 00000000336C: 7EA20280
	s_mul_i32 s60, s83, s71                                    // 000000003370: 923C4753
	v_add_u32_e64 v82, v50, s60                                // 000000003374: D1340052 00007932
	v_mov_b32_e32 v83, 0                                       // 00000000337C: 7EA60280
	s_mul_i32 s60, s84, s71                                    // 000000003380: 923C4754
	v_add_u32_e64 v84, v50, s60                                // 000000003384: D1340054 00007932
	v_mov_b32_e32 v85, 0                                       // 00000000338C: 7EAA0280
	s_mul_i32 s60, s85, s71                                    // 000000003390: 923C4755
	v_add_u32_e64 v86, v50, s60                                // 000000003394: D1340056 00007932
	v_mov_b32_e32 v87, 0                                       // 00000000339C: 7EAE0280
	s_mul_i32 s60, s86, s71                                    // 0000000033A0: 923C4756
	v_add_u32_e64 v88, v50, s60                                // 0000000033A4: D1340058 00007932
	v_mov_b32_e32 v89, 0                                       // 0000000033AC: 7EB20280
	s_mul_i32 s60, s87, s71                                    // 0000000033B0: 923C4757
	v_add_u32_e64 v90, v50, s60                                // 0000000033B4: D134005A 00007932
	v_mov_b32_e32 v91, 0                                       // 0000000033BC: 7EB60280
	s_mul_i32 s60, s88, s71                                    // 0000000033C0: 923C4758
	v_add_u32_e64 v92, v50, s60                                // 0000000033C4: D134005C 00007932
	v_mov_b32_e32 v93, 0                                       // 0000000033CC: 7EBA0280
	s_mul_i32 s60, s89, s71                                    // 0000000033D0: 923C4759
	v_add_u32_e64 v94, v50, s60                                // 0000000033D4: D134005E 00007932
	v_mov_b32_e32 v95, 0                                       // 0000000033DC: 7EBE0280
	s_mul_i32 s60, s7, 0x820                                   // 0000000033E0: 923CFF07 00000820
	s_add_u32 s50, 0, s60                                      // 0000000033E8: 80323C80
	s_add_u32 s51, 0x2080, s50                                 // 0000000033EC: 803332FF 00002080
	v_lshrrev_b32_e32 v50, 4, v0                               // 0000000033F4: 20640084
	v_lshlrev_b32_e32 v51, 2, v50                              // 0000000033F8: 24666482
	v_and_b32_e32 v50, 15, v0                                  // 0000000033FC: 2664008F
	v_lshrrev_b32_e32 v52, 2, v50                              // 000000003400: 20686482
	v_lshlrev_b32_e32 v52, 6, v52                              // 000000003404: 24686886
	v_add_u32_e32 v51, v52, v51                                // 000000003408: 68666734
	v_and_b32_e32 v50, 3, v0                                   // 00000000340C: 26640083
	v_mul_i32_i24_e32 v52, 0x208, v50                          // 000000003410: 0C6864FF 00000208
	v_add_u32_e32 v51, v52, v51                                // 000000003418: 68666734
	v_lshlrev_b32_e32 v2, 2, v51                               // 00000000341C: 24046682
	s_mul_i32 s60, s2, 0x1c0                                   // 000000003420: 923CFF02 000001C0
	s_mul_i32 s60, s60, s69                                    // 000000003428: 923C453C
	s_mul_i32 s61, s5, s72                                     // 00000000342C: 923D4805
	s_add_u32 s60, s61, s60                                    // 000000003430: 803C3C3D
	s_add_u32 s24, s60, s24                                    // 000000003434: 8018183C
	s_addc_u32 s25, 0, s25                                     // 000000003438: 82191980
	s_mul_i32 s60, s7, 16                                      // 00000000343C: 923C9007
	s_mul_i32 s60, s60, s69                                    // 000000003440: 923C453C
	v_lshlrev_b32_e32 v34, 4, v0                               // 000000003444: 24440084
	v_add_u32_e32 v34, s60, v34                                // 000000003448: 6844443C
	s_mul_i32 s60, 64, s69                                     // 00000000344C: 923C45C0
	v_add_u32_e32 v35, s60, v34                                // 000000003450: 6846443C
	v_add_u32_e32 v36, s60, v35                                // 000000003454: 6848463C
	v_add_u32_e32 v37, s60, v36                                // 000000003458: 684A483C
	v_add_u32_e32 v38, s60, v37                                // 00000000345C: 684C4A3C
	v_add_u32_e32 v39, s60, v38                                // 000000003460: 684E4C3C
	v_add_u32_e32 v40, s60, v39                                // 000000003464: 68504E3C
	s_mul_i32 s60, s2, 0x1c00                                  // 000000003468: 923CFF02 00001C00
	s_mul_i32 s61, s5, s73                                     // 000000003470: 923D4905
	s_add_u32 s60, s61, s60                                    // 000000003474: 803C3C3D
	s_add_u32 s12, s60, s12                                    // 000000003478: 800C0C3C
	s_addc_u32 s13, 0, s13                                     // 00000000347C: 820D0D80
	s_mul_i32 s60, s7, 16                                      // 000000003480: 923C9007
	s_mul_i32 s60, s60, s70                                    // 000000003484: 923C463C
	v_lshlrev_b32_e32 v41, 4, v0                               // 000000003488: 24520084
	v_add_u32_e32 v41, s60, v41                                // 00000000348C: 6852523C
	s_mul_i32 s60, 64, s70                                     // 000000003490: 923C46C0
	v_add_u32_e32 v42, s60, v41                                // 000000003494: 6854523C
	v_add_u32_e32 v43, s60, v42                                // 000000003498: 6856543C
	v_add_u32_e32 v44, s60, v43                                // 00000000349C: 6858563C
	s_mul_i32 s60, s3, 32                                      // 0000000034A0: 923CA003
	s_mul_i32 s60, 4, s60                                      // 0000000034A4: 923C3C84
	s_add_u32 s40, s60, s40                                    // 0000000034A8: 8028283C
	s_addc_u32 s41, 0, s41                                     // 0000000034AC: 82292980
	v_and_b32_e32 v50, 15, v0                                  // 0000000034B0: 2664008F
	v_lshlrev_b32_e32 v8, 2, v50                               // 0000000034B4: 24106482
	v_add_u32_e32 v9, 64, v8                                   // 0000000034B8: 681210C0
	v_lshrrev_b32_e32 v50, 4, v0                               // 0000000034BC: 20640084
	v_lshlrev_b32_e32 v51, 2, v50                              // 0000000034C0: 24666482
	v_and_b32_e32 v50, 15, v0                                  // 0000000034C4: 2664008F
	v_lshrrev_b32_e32 v52, 2, v50                              // 0000000034C8: 20686482
	v_lshlrev_b32_e32 v52, 6, v52                              // 0000000034CC: 24686886
	v_add_u32_e32 v51, v52, v51                                // 0000000034D0: 68666734
	v_and_b32_e32 v50, 3, v0                                   // 0000000034D4: 26640083
	v_add_u32_e32 v51, v50, v51                                // 0000000034D8: 68666732
	v_lshlrev_b32_e32 v10, 2, v51                              // 0000000034DC: 24146682
	v_add_u32_e32 v11, 0x400, v10                              // 0000000034E0: 681614FF 00000400
	s_mul_i32 s60, s7, 16                                      // 0000000034E8: 923C9007
	s_mul_i32 s60, s60, 4                                      // 0000000034EC: 923C843C
	v_add_u32_e32 v10, s60, v10                                // 0000000034F0: 6814143C
	v_add_u32_e32 v11, s60, v11                                // 0000000034F4: 6816163C
	v_mov_b32_e32 v5, v10                                      // 0000000034F8: 7E0A030A
	s_mul_i32 s60, s2, 0x1c0                                   // 0000000034FC: 923CFF02 000001C0
	s_mul_i32 s60, s60, 4                                      // 000000003504: 923C843C
	s_mul_i32 s61, s5, s74                                     // 000000003508: 923D4A05
	s_add_u32 s61, s61, s60                                    // 00000000350C: 803D3C3D
	s_mul_i32 s62, s5, s76                                     // 000000003510: 923E4C05
	s_add_u32 s62, s62, s60                                    // 000000003514: 803E3C3E
	s_add_u32 s32, s61, s32                                    // 000000003518: 8020203D
	s_addc_u32 s33, 0, s33                                     // 00000000351C: 82212180
	s_add_u32 s36, s62, s36                                    // 000000003520: 8024243E
	s_addc_u32 s37, 0, s37                                     // 000000003524: 82252580
	s_mul_i32 s60, s5, s75                                     // 000000003528: 923C4B05
	s_add_u32 s16, s60, s16                                    // 00000000352C: 8010103C
	s_addc_u32 s17, 0, s17                                     // 000000003530: 82111180
	s_mov_b32 s57, 0x100                                       // 000000003534: BEB900FF 00000100
	s_mov_b32 s58, 0x1000                                      // 00000000353C: BEBA00FF 00001000
	s_mov_b32 s79, 0x400                                       // 000000003544: BECF00FF 00000400
	s_mov_b32 s59, 0x200                                       // 00000000354C: BEBB00FF 00000200
	s_mul_i32 s60, s70, 0x100                                  // 000000003554: 923CFF46 00000100
	s_mov_b32 s78, 0x400                                       // 00000000355C: BECE00FF 00000400
	s_mul_i32 s61, s78, 6                                      // 000000003564: 923D864E
	s_sub_u32 s56, s60, s61                                    // 000000003568: 80B83D3C
	s_mov_b32 s52, 0x7060302                                   // 00000000356C: BEB400FF 07060302
	s_mov_b32 s53, 0x400                                       // 000000003574: BEB500FF 00000400
	s_mov_b32 s54, 0x40100                                     // 00000000357C: BEB600FF 00040100
	s_mov_b32 s55, 0x4020100                                   // 000000003584: BEB700FF 04020100
	s_mov_b32 s6, 0x3fb8aa3b                                   // 00000000358C: BE8600FF 3FB8AA3B
	s_mov_b32 s77, 0xbd92220c                                  // 000000003594: BECD00FF BD92220C
	s_mov_b32 m0, s50                                          // 00000000359C: BEFC0032
	v_mov_b32_e32 v1, 0xbfcc4231                               // 0000000035A0: 7E0202FF BFCC4231
	v_mov_b32_e32 v46, 0xffff0000                              // 0000000035A8: 7E5C02FF FFFF0000
	v_mov_b32_e32 v47, 0x7fff0000                              // 0000000035B0: 7E5E02FF 7FFF0000
	v_mov_b32_e32 v48, 0x7fff                                  // 0000000035B8: 7E6002FF 00007FFF
	s_waitcnt vmcnt(0) expcnt(0) lgkmcnt(0)                    // 0000000035C0: BF8C0000
	v_lshrrev_b32_e32 v50, 24, v6                              // 0000000035C4: 20640C98
	v_mul_i32_i24_e32 v50, s66, v50                            // 0000000035C8: 0C646442
	v_and_b32_e32 v51, 0xffffff, v6                            // 0000000035CC: 26660CFF 00FFFFFF
	v_add_u32_e32 v6, v50, v51                                 // 0000000035D4: 680C6732
	v_lshrrev_b32_e32 v50, 24, v7                              // 0000000035D8: 20640E98
	v_mul_i32_i24_e32 v50, s66, v50                            // 0000000035DC: 0C646442
	v_and_b32_e32 v51, 0xffffff, v7                            // 0000000035E0: 26660EFF 00FFFFFF
	v_add_u32_e32 v7, v50, v51                                 // 0000000035E8: 680E6732
	v_lshlrev_b32_e32 v6, 2, v6                                // 0000000035EC: 240C0C82
	v_lshlrev_b32_e32 v7, 2, v7                                // 0000000035F0: 240E0E82
	buffer_load_dword v14, v6, s[28:31], 0 offen               // 0000000035F4: E0501000 80070E06
	buffer_load_dword v15, v7, s[28:31], 0 offen               // 0000000035FC: E0501000 80070F07
	buffer_load_dword v16, v10, s[32:35], 0 offen              // 000000003604: E0501000 8008100A
	buffer_load_dword v17, v11, s[32:35], 0 offen              // 00000000360C: E0501000 8008110B
	buffer_load_dword v18, v10, s[36:39], 0 offen              // 000000003614: E0501000 8009120A
	buffer_load_dword v19, v11, s[36:39], 0 offen              // 00000000361C: E0501000 8009130B
	buffer_load_dword v20, v8, s[40:43], 0 offen               // 000000003624: E0501000 800A1408
	buffer_load_dword v21, v9, s[40:43], 0 offen               // 00000000362C: E0501000 800A1509
	buffer_load_dword v26, s[20:23], 0 offen lds               // 000000003634: E0511000 8005001A
	s_add_u32 m0, 0x100, s50                                   // 00000000363C: 807C32FF 00000100
	buffer_load_dword v27, s[20:23], 0 offen lds               // 000000003644: E0511000 8005001B
	s_add_u32 m0, 0x200, s50                                   // 00000000364C: 807C32FF 00000200
	buffer_load_dword v28, s[20:23], 0 offen lds               // 000000003654: E0511000 8005001C
	s_add_u32 m0, 0x300, s50                                   // 00000000365C: 807C32FF 00000300
	buffer_load_dword v29, s[20:23], 0 offen lds               // 000000003664: E0511000 8005001D
	s_add_u32 m0, 0x400, s50                                   // 00000000366C: 807C32FF 00000400
	buffer_load_dword v30, s[20:23], 0 offen lds               // 000000003674: E0511000 8005001E
	s_add_u32 m0, 0x500, s50                                   // 00000000367C: 807C32FF 00000500
	buffer_load_dword v31, s[20:23], 0 offen lds               // 000000003684: E0511000 8005001F
	s_add_u32 m0, 0x600, s50                                   // 00000000368C: 807C32FF 00000600
	buffer_load_dword v32, s[20:23], 0 offen lds               // 000000003694: E0511000 80050020
	s_add_u32 m0, 0x700, s50                                   // 00000000369C: 807C32FF 00000700
	buffer_load_dword v33, s[20:23], 0 offen lds               // 0000000036A4: E0511000 80050021
	s_add_u32 m0, 0, s51                                       // 0000000036AC: 807C3380
	s_add_u32 s20, s57, s20                                    // 0000000036B0: 80141439
	s_addc_u32 s21, 0, s21                                     // 0000000036B4: 82151580
	buffer_load_dword v26, s[20:23], 0 offen lds               // 0000000036B8: E0511000 8005001A
	s_add_u32 m0, 0x100, s51                                   // 0000000036C0: 807C33FF 00000100
	buffer_load_dword v27, s[20:23], 0 offen lds               // 0000000036C8: E0511000 8005001B
	s_add_u32 m0, 0x200, s51                                   // 0000000036D0: 807C33FF 00000200
	buffer_load_dword v28, s[20:23], 0 offen lds               // 0000000036D8: E0511000 8005001C
	s_add_u32 m0, 0x300, s51                                   // 0000000036E0: 807C33FF 00000300
	buffer_load_dword v29, s[20:23], 0 offen lds               // 0000000036E8: E0511000 8005001D
	s_add_u32 m0, 0x400, s51                                   // 0000000036F0: 807C33FF 00000400
	buffer_load_dword v30, s[20:23], 0 offen lds               // 0000000036F8: E0511000 8005001E
	s_add_u32 m0, 0x500, s51                                   // 000000003700: 807C33FF 00000500
	buffer_load_dword v31, s[20:23], 0 offen lds               // 000000003708: E0511000 8005001F
	s_add_u32 m0, 0x600, s51                                   // 000000003710: 807C33FF 00000600
	buffer_load_dword v32, s[20:23], 0 offen lds               // 000000003718: E0511000 80050020
	s_add_u32 m0, 0x700, s51                                   // 000000003720: 807C33FF 00000700
	buffer_load_dword v33, s[20:23], 0 offen lds               // 000000003728: E0511000 80050021
	s_add_u32 m0, 0, s50                                       // 000000003730: 807C3280
	s_add_u32 s20, s57, s20                                    // 000000003734: 80141439
	s_addc_u32 s21, 0, s21                                     // 000000003738: 82151580
	buffer_load_dwordx4 a[0:3], v34, s[24:27], 0 offen         // 00000000373C: E05C1000 80860022
	buffer_load_dwordx4 a[4:7], v34, s[24:27], 0 offen offset:1024// 000000003744: E05C1400 80860422
	buffer_load_dwordx4 a[8:11], v34, s[24:27], 0 offen offset:2048// 00000000374C: E05C1800 80860822
	buffer_load_dwordx4 a[12:15], v34, s[24:27], 0 offen offset:3072// 000000003754: E05C1C00 80860C22
	buffer_load_dwordx4 a[16:19], v35, s[24:27], 0 offen       // 00000000375C: E05C1000 80861023
	buffer_load_dwordx4 a[20:23], v35, s[24:27], 0 offen offset:1024// 000000003764: E05C1400 80861423
	buffer_load_dwordx4 a[24:27], v35, s[24:27], 0 offen offset:2048// 00000000376C: E05C1800 80861823
	buffer_load_dwordx4 a[28:31], v35, s[24:27], 0 offen offset:3072// 000000003774: E05C1C00 80861C23
	buffer_load_dwordx4 a[32:35], v36, s[24:27], 0 offen       // 00000000377C: E05C1000 80862024
	buffer_load_dwordx4 a[36:39], v36, s[24:27], 0 offen offset:1024// 000000003784: E05C1400 80862424
	buffer_load_dwordx4 a[40:43], v36, s[24:27], 0 offen offset:2048// 00000000378C: E05C1800 80862824
	buffer_load_dwordx4 a[44:47], v36, s[24:27], 0 offen offset:3072// 000000003794: E05C1C00 80862C24
	buffer_load_dwordx4 a[48:51], v37, s[24:27], 0 offen       // 00000000379C: E05C1000 80863025
	buffer_load_dwordx4 a[52:55], v37, s[24:27], 0 offen offset:1024// 0000000037A4: E05C1400 80863425
	buffer_load_dwordx4 a[56:59], v37, s[24:27], 0 offen offset:2048// 0000000037AC: E05C1800 80863825
	buffer_load_dwordx4 a[60:63], v37, s[24:27], 0 offen offset:3072// 0000000037B4: E05C1C00 80863C25
	buffer_load_dwordx4 a[64:67], v38, s[24:27], 0 offen       // 0000000037BC: E05C1000 80864026
	buffer_load_dwordx4 a[68:71], v38, s[24:27], 0 offen offset:1024// 0000000037C4: E05C1400 80864426
	buffer_load_dwordx4 a[72:75], v38, s[24:27], 0 offen offset:2048// 0000000037CC: E05C1800 80864826
	buffer_load_dwordx4 a[76:79], v38, s[24:27], 0 offen offset:3072// 0000000037D4: E05C1C00 80864C26
	buffer_load_dwordx4 a[80:83], v39, s[24:27], 0 offen       // 0000000037DC: E05C1000 80865027
	buffer_load_dwordx4 a[84:87], v39, s[24:27], 0 offen offset:1024// 0000000037E4: E05C1400 80865427
	buffer_load_dwordx4 a[88:91], v39, s[24:27], 0 offen offset:2048// 0000000037EC: E05C1800 80865827
	buffer_load_dwordx4 a[92:95], v39, s[24:27], 0 offen offset:3072// 0000000037F4: E05C1C00 80865C27
	buffer_load_dwordx4 a[96:99], v40, s[24:27], 0 offen       // 0000000037FC: E05C1000 80866028
	buffer_load_dwordx4 a[100:103], v40, s[24:27], 0 offen offset:1024// 000000003804: E05C1400 80866428
	buffer_load_dwordx4 a[104:107], v40, s[24:27], 0 offen offset:2048// 00000000380C: E05C1800 80866828
	buffer_load_dwordx4 a[108:111], v40, s[24:27], 0 offen offset:3072// 000000003814: E05C1C00 80866C28
	s_add_u32 s24, s58, s24                                    // 00000000381C: 8018183A
	s_addc_u32 s25, 0, s25                                     // 000000003820: 82191980
	v_mov_b32_e32 v128, 0                                      // 000000003824: 7F000280
	v_mov_b32_e32 v129, 0                                      // 000000003828: 7F020280
	v_mov_b32_e32 v130, 0                                      // 00000000382C: 7F040280
	v_mov_b32_e32 v131, 0                                      // 000000003830: 7F060280
	v_mov_b32_e32 v132, 0                                      // 000000003834: 7F080280
	v_mov_b32_e32 v133, 0                                      // 000000003838: 7F0A0280
	v_mov_b32_e32 v134, 0                                      // 00000000383C: 7F0C0280
	v_mov_b32_e32 v135, 0                                      // 000000003840: 7F0E0280
	v_mov_b32_e32 v136, 0                                      // 000000003844: 7F100280
	v_mov_b32_e32 v137, 0                                      // 000000003848: 7F120280
	v_mov_b32_e32 v138, 0                                      // 00000000384C: 7F140280
	v_mov_b32_e32 v139, 0                                      // 000000003850: 7F160280
	v_mov_b32_e32 v140, 0                                      // 000000003854: 7F180280
	v_mov_b32_e32 v141, 0                                      // 000000003858: 7F1A0280
	v_mov_b32_e32 v142, 0                                      // 00000000385C: 7F1C0280
	v_mov_b32_e32 v143, 0                                      // 000000003860: 7F1E0280
	v_mov_b32_e32 v144, 0                                      // 000000003864: 7F200280
	v_mov_b32_e32 v145, 0                                      // 000000003868: 7F220280
	v_mov_b32_e32 v146, 0                                      // 00000000386C: 7F240280
	v_mov_b32_e32 v147, 0                                      // 000000003870: 7F260280
	v_mov_b32_e32 v148, 0                                      // 000000003874: 7F280280
	v_mov_b32_e32 v149, 0                                      // 000000003878: 7F2A0280
	v_mov_b32_e32 v150, 0                                      // 00000000387C: 7F2C0280
	v_mov_b32_e32 v151, 0                                      // 000000003880: 7F2E0280
	v_mov_b32_e32 v152, 0                                      // 000000003884: 7F300280
	v_mov_b32_e32 v153, 0                                      // 000000003888: 7F320280
	v_mov_b32_e32 v154, 0                                      // 00000000388C: 7F340280
	v_mov_b32_e32 v155, 0                                      // 000000003890: 7F360280
	v_mov_b32_e32 v156, 0                                      // 000000003894: 7F380280
	v_mov_b32_e32 v157, 0                                      // 000000003898: 7F3A0280
	v_mov_b32_e32 v158, 0                                      // 00000000389C: 7F3C0280
	v_mov_b32_e32 v159, 0                                      // 0000000038A0: 7F3E0280
	v_mov_b32_e32 v160, 0                                      // 0000000038A4: 7F400280
	v_mov_b32_e32 v161, 0                                      // 0000000038A8: 7F420280
	v_mov_b32_e32 v162, 0                                      // 0000000038AC: 7F440280
	v_mov_b32_e32 v163, 0                                      // 0000000038B0: 7F460280
	v_mov_b32_e32 v164, 0                                      // 0000000038B4: 7F480280
	v_mov_b32_e32 v165, 0                                      // 0000000038B8: 7F4A0280
	v_mov_b32_e32 v166, 0                                      // 0000000038BC: 7F4C0280
	v_mov_b32_e32 v167, 0                                      // 0000000038C0: 7F4E0280
	v_mov_b32_e32 v168, 0                                      // 0000000038C4: 7F500280
	v_mov_b32_e32 v169, 0                                      // 0000000038C8: 7F520280
	v_mov_b32_e32 v170, 0                                      // 0000000038CC: 7F540280
	v_mov_b32_e32 v171, 0                                      // 0000000038D0: 7F560280
	v_mov_b32_e32 v172, 0                                      // 0000000038D4: 7F580280
	v_mov_b32_e32 v173, 0                                      // 0000000038D8: 7F5A0280
	v_mov_b32_e32 v174, 0                                      // 0000000038DC: 7F5C0280
	v_mov_b32_e32 v175, 0                                      // 0000000038E0: 7F5E0280
	v_mov_b32_e32 v176, 0                                      // 0000000038E4: 7F600280
	v_mov_b32_e32 v177, 0                                      // 0000000038E8: 7F620280
	v_mov_b32_e32 v178, 0                                      // 0000000038EC: 7F640280
	v_mov_b32_e32 v179, 0                                      // 0000000038F0: 7F660280
	v_mov_b32_e32 v180, 0                                      // 0000000038F4: 7F680280
	v_mov_b32_e32 v181, 0                                      // 0000000038F8: 7F6A0280
	v_mov_b32_e32 v182, 0                                      // 0000000038FC: 7F6C0280
	v_mov_b32_e32 v183, 0                                      // 000000003900: 7F6E0280
	v_lshrrev_b32_e32 v50, 4, v0                               // 000000003904: 20640084
	v_mul_i32_i24_e32 v3, 34, v50                              // 000000003908: 0C0664A2
	v_and_b32_e32 v50, 15, v0                                  // 00000000390C: 2664008F
	v_mul_i32_i24_e32 v51, 2, v50                              // 000000003910: 0C666482
	v_add_u32_e32 v3, v51, v3                                  // 000000003914: 68060733
	s_mul_i32 s60, s7, 0x88                                    // 000000003918: 923CFF07 00000088
	v_add_u32_e32 v3, s60, v3                                  // 000000003920: 6806063C
	v_lshlrev_b32_e32 v3, 2, v3                                // 000000003924: 24060682
	v_lshrrev_b32_e32 v50, 1, v0                               // 000000003928: 20640081
	v_mul_i32_i24_e32 v4, 34, v50                              // 00000000392C: 0C0864A2
	v_and_b32_e32 v51, 1, v0                                   // 000000003930: 26660081
	v_add_u32_e32 v4, v51, v4                                  // 000000003934: 68080933
	s_mul_i32 s60, s7, 2                                       // 000000003938: 923C8207
	v_add_u32_e32 v4, s60, v4                                  // 00000000393C: 6808083C
	v_lshlrev_b32_e32 v4, 2, v4                                // 000000003940: 24080882
	s_waitcnt vmcnt(36)                                        // 000000003944: BF8C8F74
	s_barrier                                                  // 000000003948: BF8A0000
	ds_read_b128 v[184:187], v2                                // 00000000394C: D9FE0000 B8000002
	ds_read_b128 v[188:191], v2 offset:64                      // 000000003954: D9FE0040 BC000002
	ds_read_b128 v[192:195], v2 offset:128                     // 00000000395C: D9FE0080 C0000002
	ds_read_b128 v[196:199], v2 offset:192                     // 000000003964: D9FE00C0 C4000002
	ds_read_b128 v[200:203], v2 offset:1024                    // 00000000396C: D9FE0400 C8000002
	ds_read_b128 v[204:207], v2 offset:1088                    // 000000003974: D9FE0440 CC000002
	ds_read_b128 v[208:211], v2 offset:1152                    // 00000000397C: D9FE0480 D0000002
	ds_read_b128 v[212:215], v2 offset:1216                    // 000000003984: D9FE04C0 D4000002
	s_cmp_lt_i32 s7, 2                                         // 00000000398C: BF048207
	s_cbranch_scc0 label_0F7E                                  // 000000003990: BF840C99

0000000000003994 <label_02E5>:
	s_waitcnt vmcnt(20) lgkmcnt(0)                             // 000000003994: BF8C4074
	s_barrier                                                  // 000000003998: BF8A0000
	v_mfma_i32_16x16x32_i8 v[128:131], a[0:1], v[184:185], v[128:131]// 00000000399C: D3D70080 0E037100
	v_mfma_i32_16x16x32_i8 v[128:131], a[2:3], v[186:187], v[128:131]// 0000000039A4: D3D70080 0E037502
	buffer_load_dwordx4 a[112:115], v34, s[24:27], 0 offen     // 0000000039AC: E05C1000 80867022
	v_mfma_i32_16x16x32_i8 v[128:131], a[4:5], v[188:189], v[128:131]// 0000000039B4: D3D70080 0E037904
	v_mfma_i32_16x16x32_i8 v[128:131], a[6:7], v[190:191], v[128:131]// 0000000039BC: D3D70080 0E037D06
	buffer_load_dword v26, s[20:23], 0 offen lds               // 0000000039C4: E0511000 8005001A
	s_add_u32 m0, 0x100, s50                                   // 0000000039CC: 807C32FF 00000100
	v_mfma_i32_16x16x32_i8 v[128:131], a[8:9], v[192:193], v[128:131]// 0000000039D4: D3D70080 0E038108
	v_mfma_i32_16x16x32_i8 v[128:131], a[10:11], v[194:195], v[128:131]// 0000000039DC: D3D70080 0E03850A
	buffer_load_dwordx4 a[116:119], v34, s[24:27], 0 offen offset:1024// 0000000039E4: E05C1400 80867422
	v_mfma_i32_16x16x32_i8 v[128:131], a[12:13], v[196:197], v[128:131]// 0000000039EC: D3D70080 0E03890C
	v_mfma_i32_16x16x32_i8 v[128:131], a[14:15], v[198:199], v[128:131]// 0000000039F4: D3D70080 0E038D0E
	buffer_load_dword v27, s[20:23], 0 offen lds               // 0000000039FC: E0511000 8005001B
	s_add_u32 m0, 0x200, s50                                   // 000000003A04: 807C32FF 00000200
	v_mfma_i32_16x16x32_i8 v[132:135], a[0:1], v[200:201], v[132:135]// 000000003A0C: D3D70084 0E139100
	v_mfma_i32_16x16x32_i8 v[132:135], a[2:3], v[202:203], v[132:135]// 000000003A14: D3D70084 0E139502
	buffer_load_dwordx4 a[120:123], v34, s[24:27], 0 offen offset:2048// 000000003A1C: E05C1800 80867822
	v_mfma_i32_16x16x32_i8 v[132:135], a[4:5], v[204:205], v[132:135]// 000000003A24: D3D70084 0E139904
	v_mfma_i32_16x16x32_i8 v[132:135], a[6:7], v[206:207], v[132:135]// 000000003A2C: D3D70084 0E139D06
	buffer_load_dword v28, s[20:23], 0 offen lds               // 000000003A34: E0511000 8005001C
	s_add_u32 m0, 0x300, s50                                   // 000000003A3C: 807C32FF 00000300
	v_mfma_i32_16x16x32_i8 v[132:135], a[8:9], v[208:209], v[132:135]// 000000003A44: D3D70084 0E13A108
	v_mfma_i32_16x16x32_i8 v[132:135], a[10:11], v[210:211], v[132:135]// 000000003A4C: D3D70084 0E13A50A
	buffer_load_dwordx4 a[124:127], v34, s[24:27], 0 offen offset:3072// 000000003A54: E05C1C00 80867C22
	v_mfma_i32_16x16x32_i8 v[132:135], a[12:13], v[212:213], v[132:135]// 000000003A5C: D3D70084 0E13A90C
	v_mfma_i32_16x16x32_i8 v[132:135], a[14:15], v[214:215], v[132:135]// 000000003A64: D3D70084 0E13AD0E
	buffer_load_dword v29, s[20:23], 0 offen lds               // 000000003A6C: E0511000 8005001D
	s_add_u32 m0, 0x400, s50                                   // 000000003A74: 807C32FF 00000400
	v_mfma_i32_16x16x32_i8 v[136:139], a[16:17], v[184:185], v[136:139]// 000000003A7C: D3D70088 0E237110
	v_mfma_i32_16x16x32_i8 v[136:139], a[18:19], v[186:187], v[136:139]// 000000003A84: D3D70088 0E237512
	buffer_load_dwordx4 a[128:131], v35, s[24:27], 0 offen     // 000000003A8C: E05C1000 80868023
	v_mfma_i32_16x16x32_i8 v[136:139], a[20:21], v[188:189], v[136:139]// 000000003A94: D3D70088 0E237914
	v_mfma_i32_16x16x32_i8 v[136:139], a[22:23], v[190:191], v[136:139]// 000000003A9C: D3D70088 0E237D16
	buffer_load_dword v30, s[20:23], 0 offen lds               // 000000003AA4: E0511000 8005001E
	s_add_u32 m0, 0x500, s50                                   // 000000003AAC: 807C32FF 00000500
	v_mfma_i32_16x16x32_i8 v[136:139], a[24:25], v[192:193], v[136:139]// 000000003AB4: D3D70088 0E238118
	v_mfma_i32_16x16x32_i8 v[136:139], a[26:27], v[194:195], v[136:139]// 000000003ABC: D3D70088 0E23851A
	buffer_load_dwordx4 a[132:135], v35, s[24:27], 0 offen offset:1024// 000000003AC4: E05C1400 80868423
	v_mfma_i32_16x16x32_i8 v[136:139], a[28:29], v[196:197], v[136:139]// 000000003ACC: D3D70088 0E23891C
	v_mfma_i32_16x16x32_i8 v[136:139], a[30:31], v[198:199], v[136:139]// 000000003AD4: D3D70088 0E238D1E
	buffer_load_dword v31, s[20:23], 0 offen lds               // 000000003ADC: E0511000 8005001F
	s_add_u32 m0, 0x600, s50                                   // 000000003AE4: 807C32FF 00000600
	v_mfma_i32_16x16x32_i8 v[140:143], a[16:17], v[200:201], v[140:143]// 000000003AEC: D3D7008C 0E339110
	v_mfma_i32_16x16x32_i8 v[140:143], a[18:19], v[202:203], v[140:143]// 000000003AF4: D3D7008C 0E339512
	buffer_load_dwordx4 a[136:139], v35, s[24:27], 0 offen offset:2048// 000000003AFC: E05C1800 80868823
	v_mfma_i32_16x16x32_i8 v[140:143], a[20:21], v[204:205], v[140:143]// 000000003B04: D3D7008C 0E339914
	v_mfma_i32_16x16x32_i8 v[140:143], a[22:23], v[206:207], v[140:143]// 000000003B0C: D3D7008C 0E339D16
	buffer_load_dword v32, s[20:23], 0 offen lds               // 000000003B14: E0511000 80050020
	s_add_u32 m0, 0x700, s50                                   // 000000003B1C: 807C32FF 00000700
	v_mfma_i32_16x16x32_i8 v[140:143], a[24:25], v[208:209], v[140:143]// 000000003B24: D3D7008C 0E33A118
	v_mfma_i32_16x16x32_i8 v[140:143], a[26:27], v[210:211], v[140:143]// 000000003B2C: D3D7008C 0E33A51A
	buffer_load_dwordx4 a[140:143], v35, s[24:27], 0 offen offset:3072// 000000003B34: E05C1C00 80868C23
	v_mfma_i32_16x16x32_i8 v[140:143], a[28:29], v[212:213], v[140:143]// 000000003B3C: D3D7008C 0E33A91C
	v_mfma_i32_16x16x32_i8 v[140:143], a[30:31], v[214:215], v[140:143]// 000000003B44: D3D7008C 0E33AD1E
	buffer_load_dword v33, s[20:23], 0 offen lds               // 000000003B4C: E0511000 80050021
	s_add_u32 m0, 0, s51                                       // 000000003B54: 807C3380
	s_waitcnt vmcnt(32)                                        // 000000003B58: BF8C8F70
	v_mfma_i32_16x16x32_i8 v[144:147], a[32:33], v[184:185], v[144:147]// 000000003B5C: D3D70090 0E437120
	v_mfma_i32_16x16x32_i8 v[144:147], a[34:35], v[186:187], v[144:147]// 000000003B64: D3D70090 0E437522
	buffer_load_dwordx4 a[144:147], v36, s[24:27], 0 offen     // 000000003B6C: E05C1000 80869024
	v_mfma_i32_16x16x32_i8 v[144:147], a[36:37], v[188:189], v[144:147]// 000000003B74: D3D70090 0E437924
	v_mfma_i32_16x16x32_i8 v[144:147], a[38:39], v[190:191], v[144:147]// 000000003B7C: D3D70090 0E437D26
	ds_read_b128 v[216:219], v2 offset:8320                    // 000000003B84: D9FE2080 D8000002
	v_mfma_i32_16x16x32_i8 v[144:147], a[40:41], v[192:193], v[144:147]// 000000003B8C: D3D70090 0E438128
	v_mfma_i32_16x16x32_i8 v[144:147], a[42:43], v[194:195], v[144:147]// 000000003B94: D3D70090 0E43852A
	buffer_load_dwordx4 a[148:151], v36, s[24:27], 0 offen offset:1024// 000000003B9C: E05C1400 80869424
	v_mfma_i32_16x16x32_i8 v[144:147], a[44:45], v[196:197], v[144:147]// 000000003BA4: D3D70090 0E43892C
	v_mfma_i32_16x16x32_i8 v[144:147], a[46:47], v[198:199], v[144:147]// 000000003BAC: D3D70090 0E438D2E
	ds_read_b128 v[220:223], v2 offset:8384                    // 000000003BB4: D9FE20C0 DC000002
	v_mfma_i32_16x16x32_i8 v[148:151], a[32:33], v[200:201], v[148:151]// 000000003BBC: D3D70094 0E539120
	v_mfma_i32_16x16x32_i8 v[148:151], a[34:35], v[202:203], v[148:151]// 000000003BC4: D3D70094 0E539522
	buffer_load_dwordx4 a[152:155], v36, s[24:27], 0 offen offset:2048// 000000003BCC: E05C1800 80869824
	v_mfma_i32_16x16x32_i8 v[148:151], a[36:37], v[204:205], v[148:151]// 000000003BD4: D3D70094 0E539924
	v_mfma_i32_16x16x32_i8 v[148:151], a[38:39], v[206:207], v[148:151]// 000000003BDC: D3D70094 0E539D26
	ds_read_b128 v[224:227], v2 offset:8448                    // 000000003BE4: D9FE2100 E0000002
	v_mfma_i32_16x16x32_i8 v[148:151], a[40:41], v[208:209], v[148:151]// 000000003BEC: D3D70094 0E53A128
	v_mfma_i32_16x16x32_i8 v[148:151], a[42:43], v[210:211], v[148:151]// 000000003BF4: D3D70094 0E53A52A
	buffer_load_dwordx4 a[156:159], v36, s[24:27], 0 offen offset:3072// 000000003BFC: E05C1C00 80869C24
	v_mfma_i32_16x16x32_i8 v[148:151], a[44:45], v[212:213], v[148:151]// 000000003C04: D3D70094 0E53A92C
	v_mfma_i32_16x16x32_i8 v[148:151], a[46:47], v[214:215], v[148:151]// 000000003C0C: D3D70094 0E53AD2E
	ds_read_b128 v[228:231], v2 offset:8512                    // 000000003C14: D9FE2140 E4000002
	s_waitcnt vmcnt(32)                                        // 000000003C1C: BF8C8F70
	v_mfma_i32_16x16x32_i8 v[152:155], a[48:49], v[184:185], v[152:155]// 000000003C20: D3D70098 0E637130
	v_mfma_i32_16x16x32_i8 v[152:155], a[50:51], v[186:187], v[152:155]// 000000003C28: D3D70098 0E637532
	buffer_load_dwordx4 a[160:163], v37, s[24:27], 0 offen     // 000000003C30: E05C1000 8086A025
	v_mfma_i32_16x16x32_i8 v[152:155], a[52:53], v[188:189], v[152:155]// 000000003C38: D3D70098 0E637934
	v_mfma_i32_16x16x32_i8 v[152:155], a[54:55], v[190:191], v[152:155]// 000000003C40: D3D70098 0E637D36
	ds_read_b128 v[232:235], v2 offset:9344                    // 000000003C48: D9FE2480 E8000002
	v_mfma_i32_16x16x32_i8 v[152:155], a[56:57], v[192:193], v[152:155]// 000000003C50: D3D70098 0E638138
	v_mfma_i32_16x16x32_i8 v[152:155], a[58:59], v[194:195], v[152:155]// 000000003C58: D3D70098 0E63853A
	buffer_load_dwordx4 a[164:167], v37, s[24:27], 0 offen offset:1024// 000000003C60: E05C1400 8086A425
	v_mfma_i32_16x16x32_i8 v[152:155], a[60:61], v[196:197], v[152:155]// 000000003C68: D3D70098 0E63893C
	v_mfma_i32_16x16x32_i8 v[152:155], a[62:63], v[198:199], v[152:155]// 000000003C70: D3D70098 0E638D3E
	ds_read_b128 v[236:239], v2 offset:9408                    // 000000003C78: D9FE24C0 EC000002
	v_mfma_i32_16x16x32_i8 v[156:159], a[48:49], v[200:201], v[156:159]// 000000003C80: D3D7009C 0E739130
	v_mfma_i32_16x16x32_i8 v[156:159], a[50:51], v[202:203], v[156:159]// 000000003C88: D3D7009C 0E739532
	buffer_load_dwordx4 a[168:171], v37, s[24:27], 0 offen offset:2048// 000000003C90: E05C1800 8086A825
	v_mfma_i32_16x16x32_i8 v[156:159], a[52:53], v[204:205], v[156:159]// 000000003C98: D3D7009C 0E739934
	v_mfma_i32_16x16x32_i8 v[156:159], a[54:55], v[206:207], v[156:159]// 000000003CA0: D3D7009C 0E739D36
	ds_read_b128 v[240:243], v2 offset:9472                    // 000000003CA8: D9FE2500 F0000002
	v_mfma_i32_16x16x32_i8 v[156:159], a[56:57], v[208:209], v[156:159]// 000000003CB0: D3D7009C 0E73A138
	v_mfma_i32_16x16x32_i8 v[156:159], a[58:59], v[210:211], v[156:159]// 000000003CB8: D3D7009C 0E73A53A
	buffer_load_dwordx4 a[172:175], v37, s[24:27], 0 offen offset:3072// 000000003CC0: E05C1C00 8086AC25
	v_mfma_i32_16x16x32_i8 v[156:159], a[60:61], v[212:213], v[156:159]// 000000003CC8: D3D7009C 0E73A93C
	v_mfma_i32_16x16x32_i8 v[156:159], a[62:63], v[214:215], v[156:159]// 000000003CD0: D3D7009C 0E73AD3E
	ds_read_b128 v[244:247], v2 offset:9536                    // 000000003CD8: D9FE2540 F4000002
	s_waitcnt vmcnt(32)                                        // 000000003CE0: BF8C8F70
	v_mfma_i32_16x16x32_i8 v[160:163], a[64:65], v[184:185], v[160:163]// 000000003CE4: D3D700A0 0E837140
	v_mfma_i32_16x16x32_i8 v[160:163], a[66:67], v[186:187], v[160:163]// 000000003CEC: D3D700A0 0E837542
	buffer_load_dwordx4 a[176:179], v38, s[24:27], 0 offen     // 000000003CF4: E05C1000 8086B026
	v_mfma_i32_16x16x32_i8 v[160:163], a[68:69], v[188:189], v[160:163]// 000000003CFC: D3D700A0 0E837944
	v_mfma_i32_16x16x32_i8 v[160:163], a[70:71], v[190:191], v[160:163]// 000000003D04: D3D700A0 0E837D46
	v_mfma_i32_16x16x32_i8 v[160:163], a[72:73], v[192:193], v[160:163]// 000000003D0C: D3D700A0 0E838148
	v_mfma_i32_16x16x32_i8 v[160:163], a[74:75], v[194:195], v[160:163]// 000000003D14: D3D700A0 0E83854A
	buffer_load_dwordx4 a[180:183], v38, s[24:27], 0 offen offset:1024// 000000003D1C: E05C1400 8086B426
	v_mfma_i32_16x16x32_i8 v[160:163], a[76:77], v[196:197], v[160:163]// 000000003D24: D3D700A0 0E83894C
	v_mfma_i32_16x16x32_i8 v[160:163], a[78:79], v[198:199], v[160:163]// 000000003D2C: D3D700A0 0E838D4E
	v_mfma_i32_16x16x32_i8 v[164:167], a[64:65], v[200:201], v[164:167]// 000000003D34: D3D700A4 0E939140
	v_mfma_i32_16x16x32_i8 v[164:167], a[66:67], v[202:203], v[164:167]// 000000003D3C: D3D700A4 0E939542
	buffer_load_dwordx4 a[184:187], v38, s[24:27], 0 offen offset:2048// 000000003D44: E05C1800 8086B826
	v_mfma_i32_16x16x32_i8 v[164:167], a[68:69], v[204:205], v[164:167]// 000000003D4C: D3D700A4 0E939944
	v_mfma_i32_16x16x32_i8 v[164:167], a[70:71], v[206:207], v[164:167]// 000000003D54: D3D700A4 0E939D46
	v_mfma_i32_16x16x32_i8 v[164:167], a[72:73], v[208:209], v[164:167]// 000000003D5C: D3D700A4 0E93A148
	v_mfma_i32_16x16x32_i8 v[164:167], a[74:75], v[210:211], v[164:167]// 000000003D64: D3D700A4 0E93A54A
	buffer_load_dwordx4 a[188:191], v38, s[24:27], 0 offen offset:3072// 000000003D6C: E05C1C00 8086BC26
	v_mfma_i32_16x16x32_i8 v[164:167], a[76:77], v[212:213], v[164:167]// 000000003D74: D3D700A4 0E93A94C
	v_mfma_i32_16x16x32_i8 v[164:167], a[78:79], v[214:215], v[164:167]// 000000003D7C: D3D700A4 0E93AD4E
	s_waitcnt vmcnt(32)                                        // 000000003D84: BF8C8F70
	v_mfma_i32_16x16x32_i8 v[168:171], a[80:81], v[184:185], v[168:171]// 000000003D88: D3D700A8 0EA37150
	v_mfma_i32_16x16x32_i8 v[168:171], a[82:83], v[186:187], v[168:171]// 000000003D90: D3D700A8 0EA37552
	buffer_load_dwordx4 a[192:195], v39, s[24:27], 0 offen     // 000000003D98: E05C1000 8086C027
	v_mfma_i32_16x16x32_i8 v[168:171], a[84:85], v[188:189], v[168:171]// 000000003DA0: D3D700A8 0EA37954
	v_mfma_i32_16x16x32_i8 v[168:171], a[86:87], v[190:191], v[168:171]// 000000003DA8: D3D700A8 0EA37D56
	v_mfma_i32_16x16x32_i8 v[168:171], a[88:89], v[192:193], v[168:171]// 000000003DB0: D3D700A8 0EA38158
	v_mfma_i32_16x16x32_i8 v[168:171], a[90:91], v[194:195], v[168:171]// 000000003DB8: D3D700A8 0EA3855A
	buffer_load_dwordx4 a[196:199], v39, s[24:27], 0 offen offset:1024// 000000003DC0: E05C1400 8086C427
	v_mfma_i32_16x16x32_i8 v[168:171], a[92:93], v[196:197], v[168:171]// 000000003DC8: D3D700A8 0EA3895C
	v_mfma_i32_16x16x32_i8 v[168:171], a[94:95], v[198:199], v[168:171]// 000000003DD0: D3D700A8 0EA38D5E
	v_mfma_i32_16x16x32_i8 v[172:175], a[80:81], v[200:201], v[172:175]// 000000003DD8: D3D700AC 0EB39150
	v_mfma_i32_16x16x32_i8 v[172:175], a[82:83], v[202:203], v[172:175]// 000000003DE0: D3D700AC 0EB39552
	buffer_load_dwordx4 a[200:203], v39, s[24:27], 0 offen offset:2048// 000000003DE8: E05C1800 8086C827
	v_mfma_i32_16x16x32_i8 v[172:175], a[84:85], v[204:205], v[172:175]// 000000003DF0: D3D700AC 0EB39954
	v_mfma_i32_16x16x32_i8 v[172:175], a[86:87], v[206:207], v[172:175]// 000000003DF8: D3D700AC 0EB39D56
	v_mfma_i32_16x16x32_i8 v[172:175], a[88:89], v[208:209], v[172:175]// 000000003E00: D3D700AC 0EB3A158
	v_mfma_i32_16x16x32_i8 v[172:175], a[90:91], v[210:211], v[172:175]// 000000003E08: D3D700AC 0EB3A55A
	buffer_load_dwordx4 a[204:207], v39, s[24:27], 0 offen offset:3072// 000000003E10: E05C1C00 8086CC27
	v_mfma_i32_16x16x32_i8 v[172:175], a[92:93], v[212:213], v[172:175]// 000000003E18: D3D700AC 0EB3A95C
	v_mfma_i32_16x16x32_i8 v[172:175], a[94:95], v[214:215], v[172:175]// 000000003E20: D3D700AC 0EB3AD5E
	s_waitcnt vmcnt(32)                                        // 000000003E28: BF8C8F70
	v_mfma_i32_16x16x32_i8 v[176:179], a[96:97], v[184:185], v[176:179]// 000000003E2C: D3D700B0 0EC37160
	v_mfma_i32_16x16x32_i8 v[176:179], a[98:99], v[186:187], v[176:179]// 000000003E34: D3D700B0 0EC37562
	buffer_load_dwordx4 a[208:211], v40, s[24:27], 0 offen     // 000000003E3C: E05C1000 8086D028
	v_mfma_i32_16x16x32_i8 v[176:179], a[100:101], v[188:189], v[176:179]// 000000003E44: D3D700B0 0EC37964
	v_mfma_i32_16x16x32_i8 v[176:179], a[102:103], v[190:191], v[176:179]// 000000003E4C: D3D700B0 0EC37D66
	v_mfma_i32_16x16x32_i8 v[176:179], a[104:105], v[192:193], v[176:179]// 000000003E54: D3D700B0 0EC38168
	v_mfma_i32_16x16x32_i8 v[176:179], a[106:107], v[194:195], v[176:179]// 000000003E5C: D3D700B0 0EC3856A
	buffer_load_dwordx4 a[212:215], v40, s[24:27], 0 offen offset:1024// 000000003E64: E05C1400 8086D428
	v_mfma_i32_16x16x32_i8 v[176:179], a[108:109], v[196:197], v[176:179]// 000000003E6C: D3D700B0 0EC3896C
	v_mfma_i32_16x16x32_i8 v[176:179], a[110:111], v[198:199], v[176:179]// 000000003E74: D3D700B0 0EC38D6E
	v_mfma_i32_16x16x32_i8 v[180:183], a[96:97], v[200:201], v[180:183]// 000000003E7C: D3D700B4 0ED39160
	v_mfma_i32_16x16x32_i8 v[180:183], a[98:99], v[202:203], v[180:183]// 000000003E84: D3D700B4 0ED39562
	buffer_load_dwordx4 a[216:219], v40, s[24:27], 0 offen offset:2048// 000000003E8C: E05C1800 8086D828
	v_mfma_i32_16x16x32_i8 v[180:183], a[100:101], v[204:205], v[180:183]// 000000003E94: D3D700B4 0ED39964
	v_mfma_i32_16x16x32_i8 v[180:183], a[102:103], v[206:207], v[180:183]// 000000003E9C: D3D700B4 0ED39D66
	v_mfma_i32_16x16x32_i8 v[180:183], a[104:105], v[208:209], v[180:183]// 000000003EA4: D3D700B4 0ED3A168
	v_mfma_i32_16x16x32_i8 v[180:183], a[106:107], v[210:211], v[180:183]// 000000003EAC: D3D700B4 0ED3A56A
	buffer_load_dwordx4 a[220:223], v40, s[24:27], 0 offen offset:3072// 000000003EB4: E05C1C00 8086DC28
	v_mfma_i32_16x16x32_i8 v[180:183], a[108:109], v[212:213], v[180:183]// 000000003EBC: D3D700B4 0ED3A96C
	v_mfma_i32_16x16x32_i8 v[180:183], a[110:111], v[214:215], v[180:183]// 000000003EC4: D3D700B4 0ED3AD6E
	s_add_u32 s60, 0x300, s80                                  // 000000003ECC: 803C50FF 00000300
	s_cmp_lt_u32 s60, s81                                      // 000000003ED4: BF0A513C
	s_cselect_b32 s57, s57, 0                                  // 000000003ED8: 85398039
	s_add_u32 s60, 0x200, s80                                  // 000000003EDC: 803C50FF 00000200
	s_cmp_lt_u32 s60, s81                                      // 000000003EE4: BF0A513C
	s_cselect_b32 s58, s58, 0                                  // 000000003EE8: 853A803A
	s_add_u32 s20, s57, s20                                    // 000000003EEC: 80141439
	s_addc_u32 s21, 0, s21                                     // 000000003EF0: 82151580
	s_add_u32 s24, s58, s24                                    // 000000003EF4: 8018183A
	s_addc_u32 s25, 0, s25                                     // 000000003EF8: 82191980
	s_addk_i32 s80, 0x100                                      // 000000003EFC: B7500100
	s_cmp_lt_i32 s80, s81                                      // 000000003F00: BF045150
	s_cbranch_scc0 label_05A0                                  // 000000003F04: BF84015E
	s_waitcnt vmcnt(20) lgkmcnt(0)                             // 000000003F08: BF8C4074
	s_barrier                                                  // 000000003F0C: BF8A0000
	v_mfma_i32_16x16x32_i8 v[128:131], a[112:113], v[216:217], v[128:131]// 000000003F10: D3D70080 0E03B170
	v_mfma_i32_16x16x32_i8 v[128:131], a[114:115], v[218:219], v[128:131]// 000000003F18: D3D70080 0E03B572
	buffer_load_dwordx4 a[0:3], v34, s[24:27], 0 offen         // 000000003F20: E05C1000 80860022
	v_mfma_i32_16x16x32_i8 v[128:131], a[116:117], v[220:221], v[128:131]// 000000003F28: D3D70080 0E03B974
	v_mfma_i32_16x16x32_i8 v[128:131], a[118:119], v[222:223], v[128:131]// 000000003F30: D3D70080 0E03BD76
	buffer_load_dword v26, s[20:23], 0 offen lds               // 000000003F38: E0511000 8005001A
	s_add_u32 m0, 0x100, s51                                   // 000000003F40: 807C33FF 00000100
	v_mfma_i32_16x16x32_i8 v[128:131], a[120:121], v[224:225], v[128:131]// 000000003F48: D3D70080 0E03C178
	v_mfma_i32_16x16x32_i8 v[128:131], a[122:123], v[226:227], v[128:131]// 000000003F50: D3D70080 0E03C57A
	buffer_load_dwordx4 a[4:7], v34, s[24:27], 0 offen offset:1024// 000000003F58: E05C1400 80860422
	v_mfma_i32_16x16x32_i8 v[128:131], a[124:125], v[228:229], v[128:131]// 000000003F60: D3D70080 0E03C97C
	v_mfma_i32_16x16x32_i8 v[128:131], a[126:127], v[230:231], v[128:131]// 000000003F68: D3D70080 0E03CD7E
	buffer_load_dword v27, s[20:23], 0 offen lds               // 000000003F70: E0511000 8005001B
	s_add_u32 m0, 0x200, s51                                   // 000000003F78: 807C33FF 00000200
	v_mfma_i32_16x16x32_i8 v[132:135], a[112:113], v[232:233], v[132:135]// 000000003F80: D3D70084 0E13D170
	v_mfma_i32_16x16x32_i8 v[132:135], a[114:115], v[234:235], v[132:135]// 000000003F88: D3D70084 0E13D572
	buffer_load_dwordx4 a[8:11], v34, s[24:27], 0 offen offset:2048// 000000003F90: E05C1800 80860822
	v_mfma_i32_16x16x32_i8 v[132:135], a[116:117], v[236:237], v[132:135]// 000000003F98: D3D70084 0E13D974
	v_mfma_i32_16x16x32_i8 v[132:135], a[118:119], v[238:239], v[132:135]// 000000003FA0: D3D70084 0E13DD76
	buffer_load_dword v28, s[20:23], 0 offen lds               // 000000003FA8: E0511000 8005001C
	s_add_u32 m0, 0x300, s51                                   // 000000003FB0: 807C33FF 00000300
	v_mfma_i32_16x16x32_i8 v[132:135], a[120:121], v[240:241], v[132:135]// 000000003FB8: D3D70084 0E13E178
	v_mfma_i32_16x16x32_i8 v[132:135], a[122:123], v[242:243], v[132:135]// 000000003FC0: D3D70084 0E13E57A
	buffer_load_dwordx4 a[12:15], v34, s[24:27], 0 offen offset:3072// 000000003FC8: E05C1C00 80860C22
	v_mfma_i32_16x16x32_i8 v[132:135], a[124:125], v[244:245], v[132:135]// 000000003FD0: D3D70084 0E13E97C
	v_mfma_i32_16x16x32_i8 v[132:135], a[126:127], v[246:247], v[132:135]// 000000003FD8: D3D70084 0E13ED7E
	buffer_load_dword v29, s[20:23], 0 offen lds               // 000000003FE0: E0511000 8005001D
	s_add_u32 m0, 0x400, s51                                   // 000000003FE8: 807C33FF 00000400
	v_mfma_i32_16x16x32_i8 v[136:139], a[128:129], v[216:217], v[136:139]// 000000003FF0: D3D70088 0E23B180
	v_mfma_i32_16x16x32_i8 v[136:139], a[130:131], v[218:219], v[136:139]// 000000003FF8: D3D70088 0E23B582
	buffer_load_dwordx4 a[16:19], v35, s[24:27], 0 offen       // 000000004000: E05C1000 80861023
	v_mfma_i32_16x16x32_i8 v[136:139], a[132:133], v[220:221], v[136:139]// 000000004008: D3D70088 0E23B984
	v_mfma_i32_16x16x32_i8 v[136:139], a[134:135], v[222:223], v[136:139]// 000000004010: D3D70088 0E23BD86
	buffer_load_dword v30, s[20:23], 0 offen lds               // 000000004018: E0511000 8005001E
	s_add_u32 m0, 0x500, s51                                   // 000000004020: 807C33FF 00000500
	v_mfma_i32_16x16x32_i8 v[136:139], a[136:137], v[224:225], v[136:139]// 000000004028: D3D70088 0E23C188
	v_mfma_i32_16x16x32_i8 v[136:139], a[138:139], v[226:227], v[136:139]// 000000004030: D3D70088 0E23C58A
	buffer_load_dwordx4 a[20:23], v35, s[24:27], 0 offen offset:1024// 000000004038: E05C1400 80861423
	v_mfma_i32_16x16x32_i8 v[136:139], a[140:141], v[228:229], v[136:139]// 000000004040: D3D70088 0E23C98C
	v_mfma_i32_16x16x32_i8 v[136:139], a[142:143], v[230:231], v[136:139]// 000000004048: D3D70088 0E23CD8E
	buffer_load_dword v31, s[20:23], 0 offen lds               // 000000004050: E0511000 8005001F
	s_add_u32 m0, 0x600, s51                                   // 000000004058: 807C33FF 00000600
	v_mfma_i32_16x16x32_i8 v[140:143], a[128:129], v[232:233], v[140:143]// 000000004060: D3D7008C 0E33D180
	v_mfma_i32_16x16x32_i8 v[140:143], a[130:131], v[234:235], v[140:143]// 000000004068: D3D7008C 0E33D582
	buffer_load_dwordx4 a[24:27], v35, s[24:27], 0 offen offset:2048// 000000004070: E05C1800 80861823
	v_mfma_i32_16x16x32_i8 v[140:143], a[132:133], v[236:237], v[140:143]// 000000004078: D3D7008C 0E33D984
	v_mfma_i32_16x16x32_i8 v[140:143], a[134:135], v[238:239], v[140:143]// 000000004080: D3D7008C 0E33DD86
	buffer_load_dword v32, s[20:23], 0 offen lds               // 000000004088: E0511000 80050020
	s_add_u32 m0, 0x700, s51                                   // 000000004090: 807C33FF 00000700
	v_mfma_i32_16x16x32_i8 v[140:143], a[136:137], v[240:241], v[140:143]// 000000004098: D3D7008C 0E33E188
	v_mfma_i32_16x16x32_i8 v[140:143], a[138:139], v[242:243], v[140:143]// 0000000040A0: D3D7008C 0E33E58A
	buffer_load_dwordx4 a[28:31], v35, s[24:27], 0 offen offset:3072// 0000000040A8: E05C1C00 80861C23
	v_mfma_i32_16x16x32_i8 v[140:143], a[140:141], v[244:245], v[140:143]// 0000000040B0: D3D7008C 0E33E98C
	v_mfma_i32_16x16x32_i8 v[140:143], a[142:143], v[246:247], v[140:143]// 0000000040B8: D3D7008C 0E33ED8E
	buffer_load_dword v33, s[20:23], 0 offen lds               // 0000000040C0: E0511000 80050021
	s_add_u32 m0, 0, s50                                       // 0000000040C8: 807C3280
	s_waitcnt vmcnt(32)                                        // 0000000040CC: BF8C8F70
	v_mfma_i32_16x16x32_i8 v[144:147], a[144:145], v[216:217], v[144:147]// 0000000040D0: D3D70090 0E43B190
	v_mfma_i32_16x16x32_i8 v[144:147], a[146:147], v[218:219], v[144:147]// 0000000040D8: D3D70090 0E43B592
	buffer_load_dwordx4 a[32:35], v36, s[24:27], 0 offen       // 0000000040E0: E05C1000 80862024
	v_mfma_i32_16x16x32_i8 v[144:147], a[148:149], v[220:221], v[144:147]// 0000000040E8: D3D70090 0E43B994
	v_mfma_i32_16x16x32_i8 v[144:147], a[150:151], v[222:223], v[144:147]// 0000000040F0: D3D70090 0E43BD96
	ds_read_b128 v[184:187], v2                                // 0000000040F8: D9FE0000 B8000002
	v_mfma_i32_16x16x32_i8 v[144:147], a[152:153], v[224:225], v[144:147]// 000000004100: D3D70090 0E43C198
	v_mfma_i32_16x16x32_i8 v[144:147], a[154:155], v[226:227], v[144:147]// 000000004108: D3D70090 0E43C59A
	buffer_load_dwordx4 a[36:39], v36, s[24:27], 0 offen offset:1024// 000000004110: E05C1400 80862424
	v_mfma_i32_16x16x32_i8 v[144:147], a[156:157], v[228:229], v[144:147]// 000000004118: D3D70090 0E43C99C
	v_mfma_i32_16x16x32_i8 v[144:147], a[158:159], v[230:231], v[144:147]// 000000004120: D3D70090 0E43CD9E
	ds_read_b128 v[188:191], v2 offset:64                      // 000000004128: D9FE0040 BC000002
	v_mfma_i32_16x16x32_i8 v[148:151], a[144:145], v[232:233], v[148:151]// 000000004130: D3D70094 0E53D190
	v_mfma_i32_16x16x32_i8 v[148:151], a[146:147], v[234:235], v[148:151]// 000000004138: D3D70094 0E53D592
	buffer_load_dwordx4 a[40:43], v36, s[24:27], 0 offen offset:2048// 000000004140: E05C1800 80862824
	v_mfma_i32_16x16x32_i8 v[148:151], a[148:149], v[236:237], v[148:151]// 000000004148: D3D70094 0E53D994
	v_mfma_i32_16x16x32_i8 v[148:151], a[150:151], v[238:239], v[148:151]// 000000004150: D3D70094 0E53DD96
	ds_read_b128 v[192:195], v2 offset:128                     // 000000004158: D9FE0080 C0000002
	v_mfma_i32_16x16x32_i8 v[148:151], a[152:153], v[240:241], v[148:151]// 000000004160: D3D70094 0E53E198
	v_mfma_i32_16x16x32_i8 v[148:151], a[154:155], v[242:243], v[148:151]// 000000004168: D3D70094 0E53E59A
	buffer_load_dwordx4 a[44:47], v36, s[24:27], 0 offen offset:3072// 000000004170: E05C1C00 80862C24
	v_mfma_i32_16x16x32_i8 v[148:151], a[156:157], v[244:245], v[148:151]// 000000004178: D3D70094 0E53E99C
	v_mfma_i32_16x16x32_i8 v[148:151], a[158:159], v[246:247], v[148:151]// 000000004180: D3D70094 0E53ED9E
	ds_read_b128 v[196:199], v2 offset:192                     // 000000004188: D9FE00C0 C4000002
	s_waitcnt vmcnt(32)                                        // 000000004190: BF8C8F70
	v_mfma_i32_16x16x32_i8 v[152:155], a[160:161], v[216:217], v[152:155]// 000000004194: D3D70098 0E63B1A0
	v_mfma_i32_16x16x32_i8 v[152:155], a[162:163], v[218:219], v[152:155]// 00000000419C: D3D70098 0E63B5A2
	buffer_load_dwordx4 a[48:51], v37, s[24:27], 0 offen       // 0000000041A4: E05C1000 80863025
	v_mfma_i32_16x16x32_i8 v[152:155], a[164:165], v[220:221], v[152:155]// 0000000041AC: D3D70098 0E63B9A4
	v_mfma_i32_16x16x32_i8 v[152:155], a[166:167], v[222:223], v[152:155]// 0000000041B4: D3D70098 0E63BDA6
	ds_read_b128 v[200:203], v2 offset:1024                    // 0000000041BC: D9FE0400 C8000002
	v_mfma_i32_16x16x32_i8 v[152:155], a[168:169], v[224:225], v[152:155]// 0000000041C4: D3D70098 0E63C1A8
	v_mfma_i32_16x16x32_i8 v[152:155], a[170:171], v[226:227], v[152:155]// 0000000041CC: D3D70098 0E63C5AA
	buffer_load_dwordx4 a[52:55], v37, s[24:27], 0 offen offset:1024// 0000000041D4: E05C1400 80863425
	v_mfma_i32_16x16x32_i8 v[152:155], a[172:173], v[228:229], v[152:155]// 0000000041DC: D3D70098 0E63C9AC
	v_mfma_i32_16x16x32_i8 v[152:155], a[174:175], v[230:231], v[152:155]// 0000000041E4: D3D70098 0E63CDAE
	ds_read_b128 v[204:207], v2 offset:1088                    // 0000000041EC: D9FE0440 CC000002
	v_mfma_i32_16x16x32_i8 v[156:159], a[160:161], v[232:233], v[156:159]// 0000000041F4: D3D7009C 0E73D1A0
	v_mfma_i32_16x16x32_i8 v[156:159], a[162:163], v[234:235], v[156:159]// 0000000041FC: D3D7009C 0E73D5A2
	buffer_load_dwordx4 a[56:59], v37, s[24:27], 0 offen offset:2048// 000000004204: E05C1800 80863825
	v_mfma_i32_16x16x32_i8 v[156:159], a[164:165], v[236:237], v[156:159]// 00000000420C: D3D7009C 0E73D9A4
	v_mfma_i32_16x16x32_i8 v[156:159], a[166:167], v[238:239], v[156:159]// 000000004214: D3D7009C 0E73DDA6
	ds_read_b128 v[208:211], v2 offset:1152                    // 00000000421C: D9FE0480 D0000002
	v_mfma_i32_16x16x32_i8 v[156:159], a[168:169], v[240:241], v[156:159]// 000000004224: D3D7009C 0E73E1A8
	v_mfma_i32_16x16x32_i8 v[156:159], a[170:171], v[242:243], v[156:159]// 00000000422C: D3D7009C 0E73E5AA
	buffer_load_dwordx4 a[60:63], v37, s[24:27], 0 offen offset:3072// 000000004234: E05C1C00 80863C25
	v_mfma_i32_16x16x32_i8 v[156:159], a[172:173], v[244:245], v[156:159]// 00000000423C: D3D7009C 0E73E9AC
	v_mfma_i32_16x16x32_i8 v[156:159], a[174:175], v[246:247], v[156:159]// 000000004244: D3D7009C 0E73EDAE
	ds_read_b128 v[212:215], v2 offset:1216                    // 00000000424C: D9FE04C0 D4000002
	s_waitcnt vmcnt(32)                                        // 000000004254: BF8C8F70
	v_mfma_i32_16x16x32_i8 v[160:163], a[176:177], v[216:217], v[160:163]// 000000004258: D3D700A0 0E83B1B0
	v_mfma_i32_16x16x32_i8 v[160:163], a[178:179], v[218:219], v[160:163]// 000000004260: D3D700A0 0E83B5B2
	buffer_load_dwordx4 a[64:67], v38, s[24:27], 0 offen       // 000000004268: E05C1000 80864026
	v_mfma_i32_16x16x32_i8 v[160:163], a[180:181], v[220:221], v[160:163]// 000000004270: D3D700A0 0E83B9B4
	v_mfma_i32_16x16x32_i8 v[160:163], a[182:183], v[222:223], v[160:163]// 000000004278: D3D700A0 0E83BDB6
	v_mfma_i32_16x16x32_i8 v[160:163], a[184:185], v[224:225], v[160:163]// 000000004280: D3D700A0 0E83C1B8
	v_mfma_i32_16x16x32_i8 v[160:163], a[186:187], v[226:227], v[160:163]// 000000004288: D3D700A0 0E83C5BA
	buffer_load_dwordx4 a[68:71], v38, s[24:27], 0 offen offset:1024// 000000004290: E05C1400 80864426
	v_mfma_i32_16x16x32_i8 v[160:163], a[188:189], v[228:229], v[160:163]// 000000004298: D3D700A0 0E83C9BC
	v_mfma_i32_16x16x32_i8 v[160:163], a[190:191], v[230:231], v[160:163]// 0000000042A0: D3D700A0 0E83CDBE
	v_mfma_i32_16x16x32_i8 v[164:167], a[176:177], v[232:233], v[164:167]// 0000000042A8: D3D700A4 0E93D1B0
	v_mfma_i32_16x16x32_i8 v[164:167], a[178:179], v[234:235], v[164:167]// 0000000042B0: D3D700A4 0E93D5B2
	buffer_load_dwordx4 a[72:75], v38, s[24:27], 0 offen offset:2048// 0000000042B8: E05C1800 80864826
	v_mfma_i32_16x16x32_i8 v[164:167], a[180:181], v[236:237], v[164:167]// 0000000042C0: D3D700A4 0E93D9B4
	v_mfma_i32_16x16x32_i8 v[164:167], a[182:183], v[238:239], v[164:167]// 0000000042C8: D3D700A4 0E93DDB6
	v_mfma_i32_16x16x32_i8 v[164:167], a[184:185], v[240:241], v[164:167]// 0000000042D0: D3D700A4 0E93E1B8
	v_mfma_i32_16x16x32_i8 v[164:167], a[186:187], v[242:243], v[164:167]// 0000000042D8: D3D700A4 0E93E5BA
	buffer_load_dwordx4 a[76:79], v38, s[24:27], 0 offen offset:3072// 0000000042E0: E05C1C00 80864C26
	v_mfma_i32_16x16x32_i8 v[164:167], a[188:189], v[244:245], v[164:167]// 0000000042E8: D3D700A4 0E93E9BC
	v_mfma_i32_16x16x32_i8 v[164:167], a[190:191], v[246:247], v[164:167]// 0000000042F0: D3D700A4 0E93EDBE
	s_waitcnt vmcnt(32)                                        // 0000000042F8: BF8C8F70
	v_mfma_i32_16x16x32_i8 v[168:171], a[192:193], v[216:217], v[168:171]// 0000000042FC: D3D700A8 0EA3B1C0
	v_mfma_i32_16x16x32_i8 v[168:171], a[194:195], v[218:219], v[168:171]// 000000004304: D3D700A8 0EA3B5C2
	buffer_load_dwordx4 a[80:83], v39, s[24:27], 0 offen       // 00000000430C: E05C1000 80865027
	v_mfma_i32_16x16x32_i8 v[168:171], a[196:197], v[220:221], v[168:171]// 000000004314: D3D700A8 0EA3B9C4
	v_mfma_i32_16x16x32_i8 v[168:171], a[198:199], v[222:223], v[168:171]// 00000000431C: D3D700A8 0EA3BDC6
	v_mfma_i32_16x16x32_i8 v[168:171], a[200:201], v[224:225], v[168:171]// 000000004324: D3D700A8 0EA3C1C8
	v_mfma_i32_16x16x32_i8 v[168:171], a[202:203], v[226:227], v[168:171]// 00000000432C: D3D700A8 0EA3C5CA
	buffer_load_dwordx4 a[84:87], v39, s[24:27], 0 offen offset:1024// 000000004334: E05C1400 80865427
	v_mfma_i32_16x16x32_i8 v[168:171], a[204:205], v[228:229], v[168:171]// 00000000433C: D3D700A8 0EA3C9CC
	v_mfma_i32_16x16x32_i8 v[168:171], a[206:207], v[230:231], v[168:171]// 000000004344: D3D700A8 0EA3CDCE
	v_mfma_i32_16x16x32_i8 v[172:175], a[192:193], v[232:233], v[172:175]// 00000000434C: D3D700AC 0EB3D1C0
	v_mfma_i32_16x16x32_i8 v[172:175], a[194:195], v[234:235], v[172:175]// 000000004354: D3D700AC 0EB3D5C2
	buffer_load_dwordx4 a[88:91], v39, s[24:27], 0 offen offset:2048// 00000000435C: E05C1800 80865827
	v_mfma_i32_16x16x32_i8 v[172:175], a[196:197], v[236:237], v[172:175]// 000000004364: D3D700AC 0EB3D9C4
	v_mfma_i32_16x16x32_i8 v[172:175], a[198:199], v[238:239], v[172:175]// 00000000436C: D3D700AC 0EB3DDC6
	v_mfma_i32_16x16x32_i8 v[172:175], a[200:201], v[240:241], v[172:175]// 000000004374: D3D700AC 0EB3E1C8
	v_mfma_i32_16x16x32_i8 v[172:175], a[202:203], v[242:243], v[172:175]// 00000000437C: D3D700AC 0EB3E5CA
	buffer_load_dwordx4 a[92:95], v39, s[24:27], 0 offen offset:3072// 000000004384: E05C1C00 80865C27
	v_mfma_i32_16x16x32_i8 v[172:175], a[204:205], v[244:245], v[172:175]// 00000000438C: D3D700AC 0EB3E9CC
	v_mfma_i32_16x16x32_i8 v[172:175], a[206:207], v[246:247], v[172:175]// 000000004394: D3D700AC 0EB3EDCE
	s_waitcnt vmcnt(32)                                        // 00000000439C: BF8C8F70
	v_mfma_i32_16x16x32_i8 v[176:179], a[208:209], v[216:217], v[176:179]// 0000000043A0: D3D700B0 0EC3B1D0
	v_mfma_i32_16x16x32_i8 v[176:179], a[210:211], v[218:219], v[176:179]// 0000000043A8: D3D700B0 0EC3B5D2
	buffer_load_dwordx4 a[96:99], v40, s[24:27], 0 offen       // 0000000043B0: E05C1000 80866028
	v_mfma_i32_16x16x32_i8 v[176:179], a[212:213], v[220:221], v[176:179]// 0000000043B8: D3D700B0 0EC3B9D4
	v_mfma_i32_16x16x32_i8 v[176:179], a[214:215], v[222:223], v[176:179]// 0000000043C0: D3D700B0 0EC3BDD6
	v_mfma_i32_16x16x32_i8 v[176:179], a[216:217], v[224:225], v[176:179]// 0000000043C8: D3D700B0 0EC3C1D8
	v_mfma_i32_16x16x32_i8 v[176:179], a[218:219], v[226:227], v[176:179]// 0000000043D0: D3D700B0 0EC3C5DA
	buffer_load_dwordx4 a[100:103], v40, s[24:27], 0 offen offset:1024// 0000000043D8: E05C1400 80866428
	v_mfma_i32_16x16x32_i8 v[176:179], a[220:221], v[228:229], v[176:179]// 0000000043E0: D3D700B0 0EC3C9DC
	v_mfma_i32_16x16x32_i8 v[176:179], a[222:223], v[230:231], v[176:179]// 0000000043E8: D3D700B0 0EC3CDDE
	v_mfma_i32_16x16x32_i8 v[180:183], a[208:209], v[232:233], v[180:183]// 0000000043F0: D3D700B4 0ED3D1D0
	v_mfma_i32_16x16x32_i8 v[180:183], a[210:211], v[234:235], v[180:183]// 0000000043F8: D3D700B4 0ED3D5D2
	buffer_load_dwordx4 a[104:107], v40, s[24:27], 0 offen offset:2048// 000000004400: E05C1800 80866828
	v_mfma_i32_16x16x32_i8 v[180:183], a[212:213], v[236:237], v[180:183]// 000000004408: D3D700B4 0ED3D9D4
	v_mfma_i32_16x16x32_i8 v[180:183], a[214:215], v[238:239], v[180:183]// 000000004410: D3D700B4 0ED3DDD6
	v_mfma_i32_16x16x32_i8 v[180:183], a[216:217], v[240:241], v[180:183]// 000000004418: D3D700B4 0ED3E1D8
	v_mfma_i32_16x16x32_i8 v[180:183], a[218:219], v[242:243], v[180:183]// 000000004420: D3D700B4 0ED3E5DA
	buffer_load_dwordx4 a[108:111], v40, s[24:27], 0 offen offset:3072// 000000004428: E05C1C00 80866C28
	v_mfma_i32_16x16x32_i8 v[180:183], a[220:221], v[244:245], v[180:183]// 000000004430: D3D700B4 0ED3E9DC
	v_mfma_i32_16x16x32_i8 v[180:183], a[222:223], v[246:247], v[180:183]// 000000004438: D3D700B4 0ED3EDDE
	s_add_u32 s60, 0x300, s80                                  // 000000004440: 803C50FF 00000300
	s_cmp_lt_u32 s60, s81                                      // 000000004448: BF0A513C
	s_cselect_b32 s57, s57, 0                                  // 00000000444C: 85398039
	s_add_u32 s60, 0x200, s80                                  // 000000004450: 803C50FF 00000200
	s_cmp_lt_u32 s60, s81                                      // 000000004458: BF0A513C
	s_cselect_b32 s58, s58, 0                                  // 00000000445C: 853A803A
	s_add_u32 s20, s57, s20                                    // 000000004460: 80141439
	s_addc_u32 s21, 0, s21                                     // 000000004464: 82151580
	s_add_u32 s24, s58, s24                                    // 000000004468: 8018183A
	s_addc_u32 s25, 0, s25                                     // 00000000446C: 82191980
	s_addk_i32 s80, 0x100                                      // 000000004470: B7500100
	s_cmp_lt_i32 s80, s81                                      // 000000004474: BF045150
	s_cbranch_scc0 label_05A0                                  // 000000004478: BF840001
	s_branch label_02E5                                        // 00000000447C: BF82FD45

0000000000004480 <label_05A0>:
	s_mov_b32 s36, -1                                          // 000000004480: BEA400C1
	s_mov_b32 s37, -1                                          // 000000004484: BEA500C1
	s_mov_b64 s[60:61], 0                                      // 000000004488: BEBC0180
	s_cmp_lt_u32 s82, s66                                      // 00000000448C: BF0A4252
	s_cselect_b64 s[20:21], s[36:37], s[60:61]                 // 000000004490: 85943C24
	s_cmp_lt_u32 s83, s66                                      // 000000004494: BF0A4253
	s_cselect_b64 s[22:23], s[36:37], s[60:61]                 // 000000004498: 85963C24
	s_cmp_lt_u32 s84, s66                                      // 00000000449C: BF0A4254
	s_cselect_b64 s[24:25], s[36:37], s[60:61]                 // 0000000044A0: 85983C24
	s_cmp_lt_u32 s85, s66                                      // 0000000044A4: BF0A4255
	s_cselect_b64 s[26:27], s[36:37], s[60:61]                 // 0000000044A8: 859A3C24
	s_cmp_lt_u32 s86, s66                                      // 0000000044AC: BF0A4256
	s_cselect_b64 s[28:29], s[36:37], s[60:61]                 // 0000000044B0: 859C3C24
	s_cmp_lt_u32 s87, s66                                      // 0000000044B4: BF0A4257
	s_cselect_b64 s[30:31], s[36:37], s[60:61]                 // 0000000044B8: 859E3C24
	s_cmp_lt_u32 s88, s66                                      // 0000000044BC: BF0A4258
	s_cselect_b64 s[32:33], s[36:37], s[60:61]                 // 0000000044C0: 85A03C24
	s_cmp_lt_u32 s89, s66                                      // 0000000044C4: BF0A4259
	s_cselect_b64 s[34:35], s[36:37], s[60:61]                 // 0000000044C8: 85A23C24
	v_cvt_f32_i32_e32 v128, v128                               // 0000000044CC: 7F000B80
	v_cvt_f32_i32_e32 v129, v129                               // 0000000044D0: 7F020B81
	v_cvt_f32_i32_e32 v130, v130                               // 0000000044D4: 7F040B82
	v_cvt_f32_i32_e32 v131, v131                               // 0000000044D8: 7F060B83
	v_mul_f32_e32 v128, v14, v128                              // 0000000044DC: 0B01010E
	v_mul_f32_e32 v129, v14, v129                              // 0000000044E0: 0B03030E
	v_mul_f32_e32 v130, v14, v130                              // 0000000044E4: 0B05050E
	v_mul_f32_e32 v131, v14, v131                              // 0000000044E8: 0B07070E
	v_mul_f32_dpp v128, v16, v128 row_newbcast:0 row_mask:0xf bank_mask:0xf// 0000000044EC: 0B0100FA FF015010
	v_mul_f32_dpp v129, v16, v129 row_newbcast:1 row_mask:0xf bank_mask:0xf// 0000000044F4: 0B0302FA FF015110
	v_mul_f32_dpp v130, v16, v130 row_newbcast:2 row_mask:0xf bank_mask:0xf// 0000000044FC: 0B0504FA FF015210
	v_mul_f32_dpp v131, v16, v131 row_newbcast:3 row_mask:0xf bank_mask:0xf// 000000004504: 0B0706FA FF015310
	v_cvt_f32_i32_e32 v132, v132                               // 00000000450C: 7F080B84
	v_cvt_f32_i32_e32 v133, v133                               // 000000004510: 7F0A0B85
	v_cvt_f32_i32_e32 v134, v134                               // 000000004514: 7F0C0B86
	v_cvt_f32_i32_e32 v135, v135                               // 000000004518: 7F0E0B87
	v_mul_f32_e32 v132, v15, v132                              // 00000000451C: 0B09090F
	v_mul_f32_e32 v133, v15, v133                              // 000000004520: 0B0B0B0F
	v_mul_f32_e32 v134, v15, v134                              // 000000004524: 0B0D0D0F
	v_mul_f32_e32 v135, v15, v135                              // 000000004528: 0B0F0F0F
	v_mul_f32_dpp v132, v16, v132 row_newbcast:0 row_mask:0xf bank_mask:0xf// 00000000452C: 0B0908FA FF015010
	v_mul_f32_dpp v133, v16, v133 row_newbcast:1 row_mask:0xf bank_mask:0xf// 000000004534: 0B0B0AFA FF015110
	v_mul_f32_dpp v134, v16, v134 row_newbcast:2 row_mask:0xf bank_mask:0xf// 00000000453C: 0B0D0CFA FF015210
	v_mul_f32_dpp v135, v16, v135 row_newbcast:3 row_mask:0xf bank_mask:0xf// 000000004544: 0B0F0EFA FF015310
	v_cvt_f32_i32_e32 v136, v136                               // 00000000454C: 7F100B88
	v_cvt_f32_i32_e32 v137, v137                               // 000000004550: 7F120B89
	v_cvt_f32_i32_e32 v138, v138                               // 000000004554: 7F140B8A
	v_cvt_f32_i32_e32 v139, v139                               // 000000004558: 7F160B8B
	v_mul_f32_e32 v136, v14, v136                              // 00000000455C: 0B11110E
	v_mul_f32_e32 v137, v14, v137                              // 000000004560: 0B13130E
	v_mul_f32_e32 v138, v14, v138                              // 000000004564: 0B15150E
	v_mul_f32_e32 v139, v14, v139                              // 000000004568: 0B17170E
	v_mul_f32_dpp v136, v16, v136 row_newbcast:4 row_mask:0xf bank_mask:0xf// 00000000456C: 0B1110FA FF015410
	v_mul_f32_dpp v137, v16, v137 row_newbcast:5 row_mask:0xf bank_mask:0xf// 000000004574: 0B1312FA FF015510
	v_mul_f32_dpp v138, v16, v138 row_newbcast:6 row_mask:0xf bank_mask:0xf// 00000000457C: 0B1514FA FF015610
	v_mul_f32_dpp v139, v16, v139 row_newbcast:7 row_mask:0xf bank_mask:0xf// 000000004584: 0B1716FA FF015710
	v_cvt_f32_i32_e32 v140, v140                               // 00000000458C: 7F180B8C
	v_cvt_f32_i32_e32 v141, v141                               // 000000004590: 7F1A0B8D
	v_cvt_f32_i32_e32 v142, v142                               // 000000004594: 7F1C0B8E
	v_cvt_f32_i32_e32 v143, v143                               // 000000004598: 7F1E0B8F
	v_mul_f32_e32 v140, v15, v140                              // 00000000459C: 0B19190F
	v_mul_f32_e32 v141, v15, v141                              // 0000000045A0: 0B1B1B0F
	v_mul_f32_e32 v142, v15, v142                              // 0000000045A4: 0B1D1D0F
	v_mul_f32_e32 v143, v15, v143                              // 0000000045A8: 0B1F1F0F
	v_mul_f32_dpp v140, v16, v140 row_newbcast:4 row_mask:0xf bank_mask:0xf// 0000000045AC: 0B1918FA FF015410
	v_mul_f32_dpp v141, v16, v141 row_newbcast:5 row_mask:0xf bank_mask:0xf// 0000000045B4: 0B1B1AFA FF015510
	v_mul_f32_dpp v142, v16, v142 row_newbcast:6 row_mask:0xf bank_mask:0xf// 0000000045BC: 0B1D1CFA FF015610
	v_mul_f32_dpp v143, v16, v143 row_newbcast:7 row_mask:0xf bank_mask:0xf// 0000000045C4: 0B1F1EFA FF015710
	v_cvt_f32_i32_e32 v144, v144                               // 0000000045CC: 7F200B90
	v_cvt_f32_i32_e32 v145, v145                               // 0000000045D0: 7F220B91
	v_cvt_f32_i32_e32 v146, v146                               // 0000000045D4: 7F240B92
	v_cvt_f32_i32_e32 v147, v147                               // 0000000045D8: 7F260B93
	v_mul_f32_e32 v144, v14, v144                              // 0000000045DC: 0B21210E
	v_mul_f32_e32 v145, v14, v145                              // 0000000045E0: 0B23230E
	v_mul_f32_e32 v146, v14, v146                              // 0000000045E4: 0B25250E
	v_mul_f32_e32 v147, v14, v147                              // 0000000045E8: 0B27270E
	v_mul_f32_dpp v144, v16, v144 row_newbcast:8 row_mask:0xf bank_mask:0xf// 0000000045EC: 0B2120FA FF015810
	v_mul_f32_dpp v145, v16, v145 row_newbcast:9 row_mask:0xf bank_mask:0xf// 0000000045F4: 0B2322FA FF015910
	v_mul_f32_dpp v146, v16, v146 row_newbcast:10 row_mask:0xf bank_mask:0xf// 0000000045FC: 0B2524FA FF015A10
	v_mul_f32_dpp v147, v16, v147 row_newbcast:11 row_mask:0xf bank_mask:0xf// 000000004604: 0B2726FA FF015B10
	v_cvt_f32_i32_e32 v148, v148                               // 00000000460C: 7F280B94
	v_cvt_f32_i32_e32 v149, v149                               // 000000004610: 7F2A0B95
	v_cvt_f32_i32_e32 v150, v150                               // 000000004614: 7F2C0B96
	v_cvt_f32_i32_e32 v151, v151                               // 000000004618: 7F2E0B97
	v_mul_f32_e32 v148, v15, v148                              // 00000000461C: 0B29290F
	v_mul_f32_e32 v149, v15, v149                              // 000000004620: 0B2B2B0F
	v_mul_f32_e32 v150, v15, v150                              // 000000004624: 0B2D2D0F
	v_mul_f32_e32 v151, v15, v151                              // 000000004628: 0B2F2F0F
	v_mul_f32_dpp v148, v16, v148 row_newbcast:8 row_mask:0xf bank_mask:0xf// 00000000462C: 0B2928FA FF015810
	v_mul_f32_dpp v149, v16, v149 row_newbcast:9 row_mask:0xf bank_mask:0xf// 000000004634: 0B2B2AFA FF015910
	v_mul_f32_dpp v150, v16, v150 row_newbcast:10 row_mask:0xf bank_mask:0xf// 00000000463C: 0B2D2CFA FF015A10
	v_mul_f32_dpp v151, v16, v151 row_newbcast:11 row_mask:0xf bank_mask:0xf// 000000004644: 0B2F2EFA FF015B10
	v_cvt_f32_i32_e32 v152, v152                               // 00000000464C: 7F300B98
	v_cvt_f32_i32_e32 v153, v153                               // 000000004650: 7F320B99
	v_cvt_f32_i32_e32 v154, v154                               // 000000004654: 7F340B9A
	v_cvt_f32_i32_e32 v155, v155                               // 000000004658: 7F360B9B
	v_mul_f32_e32 v152, v14, v152                              // 00000000465C: 0B31310E
	v_mul_f32_e32 v153, v14, v153                              // 000000004660: 0B33330E
	v_mul_f32_e32 v154, v14, v154                              // 000000004664: 0B35350E
	v_mul_f32_e32 v155, v14, v155                              // 000000004668: 0B37370E
	v_mul_f32_dpp v152, v16, v152 row_newbcast:12 row_mask:0xf bank_mask:0xf// 00000000466C: 0B3130FA FF015C10
	v_mul_f32_dpp v153, v16, v153 row_newbcast:13 row_mask:0xf bank_mask:0xf// 000000004674: 0B3332FA FF015D10
	v_mul_f32_dpp v154, v16, v154 row_newbcast:14 row_mask:0xf bank_mask:0xf// 00000000467C: 0B3534FA FF015E10
	v_mul_f32_dpp v155, v16, v155 row_newbcast:15 row_mask:0xf bank_mask:0xf// 000000004684: 0B3736FA FF015F10
	v_cvt_f32_i32_e32 v156, v156                               // 00000000468C: 7F380B9C
	v_cvt_f32_i32_e32 v157, v157                               // 000000004690: 7F3A0B9D
	v_cvt_f32_i32_e32 v158, v158                               // 000000004694: 7F3C0B9E
	v_cvt_f32_i32_e32 v159, v159                               // 000000004698: 7F3E0B9F
	v_mul_f32_e32 v156, v15, v156                              // 00000000469C: 0B39390F
	v_mul_f32_e32 v157, v15, v157                              // 0000000046A0: 0B3B3B0F
	v_mul_f32_e32 v158, v15, v158                              // 0000000046A4: 0B3D3D0F
	v_mul_f32_e32 v159, v15, v159                              // 0000000046A8: 0B3F3F0F
	v_mul_f32_dpp v156, v16, v156 row_newbcast:12 row_mask:0xf bank_mask:0xf// 0000000046AC: 0B3938FA FF015C10
	v_mul_f32_dpp v157, v16, v157 row_newbcast:13 row_mask:0xf bank_mask:0xf// 0000000046B4: 0B3B3AFA FF015D10
	v_mul_f32_dpp v158, v16, v158 row_newbcast:14 row_mask:0xf bank_mask:0xf// 0000000046BC: 0B3D3CFA FF015E10
	v_mul_f32_dpp v159, v16, v159 row_newbcast:15 row_mask:0xf bank_mask:0xf// 0000000046C4: 0B3F3EFA FF015F10
	v_cvt_f32_i32_e32 v160, v160                               // 0000000046CC: 7F400BA0
	v_cvt_f32_i32_e32 v161, v161                               // 0000000046D0: 7F420BA1
	v_cvt_f32_i32_e32 v162, v162                               // 0000000046D4: 7F440BA2
	v_cvt_f32_i32_e32 v163, v163                               // 0000000046D8: 7F460BA3
	v_mul_f32_e32 v160, v14, v160                              // 0000000046DC: 0B41410E
	v_mul_f32_e32 v161, v14, v161                              // 0000000046E0: 0B43430E
	v_mul_f32_e32 v162, v14, v162                              // 0000000046E4: 0B45450E
	v_mul_f32_e32 v163, v14, v163                              // 0000000046E8: 0B47470E
	v_mul_f32_dpp v160, v17, v160 row_newbcast:0 row_mask:0xf bank_mask:0xf// 0000000046EC: 0B4140FA FF015011
	v_mul_f32_dpp v161, v17, v161 row_newbcast:1 row_mask:0xf bank_mask:0xf// 0000000046F4: 0B4342FA FF015111
	v_mul_f32_dpp v162, v17, v162 row_newbcast:2 row_mask:0xf bank_mask:0xf// 0000000046FC: 0B4544FA FF015211
	v_mul_f32_dpp v163, v17, v163 row_newbcast:3 row_mask:0xf bank_mask:0xf// 000000004704: 0B4746FA FF015311
	v_cvt_f32_i32_e32 v164, v164                               // 00000000470C: 7F480BA4
	v_cvt_f32_i32_e32 v165, v165                               // 000000004710: 7F4A0BA5
	v_cvt_f32_i32_e32 v166, v166                               // 000000004714: 7F4C0BA6
	v_cvt_f32_i32_e32 v167, v167                               // 000000004718: 7F4E0BA7
	v_mul_f32_e32 v164, v15, v164                              // 00000000471C: 0B49490F
	v_mul_f32_e32 v165, v15, v165                              // 000000004720: 0B4B4B0F
	v_mul_f32_e32 v166, v15, v166                              // 000000004724: 0B4D4D0F
	v_mul_f32_e32 v167, v15, v167                              // 000000004728: 0B4F4F0F
	v_mul_f32_dpp v164, v17, v164 row_newbcast:0 row_mask:0xf bank_mask:0xf// 00000000472C: 0B4948FA FF015011
	v_mul_f32_dpp v165, v17, v165 row_newbcast:1 row_mask:0xf bank_mask:0xf// 000000004734: 0B4B4AFA FF015111
	v_mul_f32_dpp v166, v17, v166 row_newbcast:2 row_mask:0xf bank_mask:0xf// 00000000473C: 0B4D4CFA FF015211
	v_mul_f32_dpp v167, v17, v167 row_newbcast:3 row_mask:0xf bank_mask:0xf// 000000004744: 0B4F4EFA FF015311
	v_cvt_f32_i32_e32 v168, v168                               // 00000000474C: 7F500BA8
	v_cvt_f32_i32_e32 v169, v169                               // 000000004750: 7F520BA9
	v_cvt_f32_i32_e32 v170, v170                               // 000000004754: 7F540BAA
	v_cvt_f32_i32_e32 v171, v171                               // 000000004758: 7F560BAB
	v_mul_f32_e32 v168, v14, v168                              // 00000000475C: 0B51510E
	v_mul_f32_e32 v169, v14, v169                              // 000000004760: 0B53530E
	v_mul_f32_e32 v170, v14, v170                              // 000000004764: 0B55550E
	v_mul_f32_e32 v171, v14, v171                              // 000000004768: 0B57570E
	v_mul_f32_dpp v168, v17, v168 row_newbcast:4 row_mask:0xf bank_mask:0xf// 00000000476C: 0B5150FA FF015411
	v_mul_f32_dpp v169, v17, v169 row_newbcast:5 row_mask:0xf bank_mask:0xf// 000000004774: 0B5352FA FF015511
	v_mul_f32_dpp v170, v17, v170 row_newbcast:6 row_mask:0xf bank_mask:0xf// 00000000477C: 0B5554FA FF015611
	v_mul_f32_dpp v171, v17, v171 row_newbcast:7 row_mask:0xf bank_mask:0xf// 000000004784: 0B5756FA FF015711
	v_cvt_f32_i32_e32 v172, v172                               // 00000000478C: 7F580BAC
	v_cvt_f32_i32_e32 v173, v173                               // 000000004790: 7F5A0BAD
	v_cvt_f32_i32_e32 v174, v174                               // 000000004794: 7F5C0BAE
	v_cvt_f32_i32_e32 v175, v175                               // 000000004798: 7F5E0BAF
	v_mul_f32_e32 v172, v15, v172                              // 00000000479C: 0B59590F
	v_mul_f32_e32 v173, v15, v173                              // 0000000047A0: 0B5B5B0F
	v_mul_f32_e32 v174, v15, v174                              // 0000000047A4: 0B5D5D0F
	v_mul_f32_e32 v175, v15, v175                              // 0000000047A8: 0B5F5F0F
	v_mul_f32_dpp v172, v17, v172 row_newbcast:4 row_mask:0xf bank_mask:0xf// 0000000047AC: 0B5958FA FF015411
	v_mul_f32_dpp v173, v17, v173 row_newbcast:5 row_mask:0xf bank_mask:0xf// 0000000047B4: 0B5B5AFA FF015511
	v_mul_f32_dpp v174, v17, v174 row_newbcast:6 row_mask:0xf bank_mask:0xf// 0000000047BC: 0B5D5CFA FF015611
	v_mul_f32_dpp v175, v17, v175 row_newbcast:7 row_mask:0xf bank_mask:0xf// 0000000047C4: 0B5F5EFA FF015711
	v_cvt_f32_i32_e32 v176, v176                               // 0000000047CC: 7F600BB0
	v_cvt_f32_i32_e32 v177, v177                               // 0000000047D0: 7F620BB1
	v_cvt_f32_i32_e32 v178, v178                               // 0000000047D4: 7F640BB2
	v_cvt_f32_i32_e32 v179, v179                               // 0000000047D8: 7F660BB3
	v_mul_f32_e32 v176, v14, v176                              // 0000000047DC: 0B61610E
	v_mul_f32_e32 v177, v14, v177                              // 0000000047E0: 0B63630E
	v_mul_f32_e32 v178, v14, v178                              // 0000000047E4: 0B65650E
	v_mul_f32_e32 v179, v14, v179                              // 0000000047E8: 0B67670E
	v_mul_f32_dpp v176, v17, v176 row_newbcast:8 row_mask:0xf bank_mask:0xf// 0000000047EC: 0B6160FA FF015811
	v_mul_f32_dpp v177, v17, v177 row_newbcast:9 row_mask:0xf bank_mask:0xf// 0000000047F4: 0B6362FA FF015911
	v_mul_f32_dpp v178, v17, v178 row_newbcast:10 row_mask:0xf bank_mask:0xf// 0000000047FC: 0B6564FA FF015A11
	v_mul_f32_dpp v179, v17, v179 row_newbcast:11 row_mask:0xf bank_mask:0xf// 000000004804: 0B6766FA FF015B11
	v_cvt_f32_i32_e32 v180, v180                               // 00000000480C: 7F680BB4
	v_cvt_f32_i32_e32 v181, v181                               // 000000004810: 7F6A0BB5
	v_cvt_f32_i32_e32 v182, v182                               // 000000004814: 7F6C0BB6
	v_cvt_f32_i32_e32 v183, v183                               // 000000004818: 7F6E0BB7
	v_mul_f32_e32 v180, v15, v180                              // 00000000481C: 0B69690F
	v_mul_f32_e32 v181, v15, v181                              // 000000004820: 0B6B6B0F
	v_mul_f32_e32 v182, v15, v182                              // 000000004824: 0B6D6D0F
	v_mul_f32_e32 v183, v15, v183                              // 000000004828: 0B6F6F0F
	v_mul_f32_dpp v180, v17, v180 row_newbcast:8 row_mask:0xf bank_mask:0xf// 00000000482C: 0B6968FA FF015811
	v_mul_f32_dpp v181, v17, v181 row_newbcast:9 row_mask:0xf bank_mask:0xf// 000000004834: 0B6B6AFA FF015911
	v_mul_f32_dpp v182, v17, v182 row_newbcast:10 row_mask:0xf bank_mask:0xf// 00000000483C: 0B6D6CFA FF015A11
	v_mul_f32_dpp v183, v17, v183 row_newbcast:11 row_mask:0xf bank_mask:0xf// 000000004844: 0B6F6EFA FF015B11
	s_waitcnt vmcnt(24)                                        // 00000000484C: BF8C4F78
	buffer_load_dwordx4 a[0:3], v41, s[12:15], 0 offen         // 000000004850: E05C1000 80830029
	v_mul_f32_e64 v50, -v128, s6                               // 000000004858: D1050032 20000D80
	v_mul_f32_e64 v51, -v129, s6                               // 000000004860: D1050033 20000D81
	v_mul_f32_e64 v52, -v130, s6                               // 000000004868: D1050034 20000D82
	v_mul_f32_e64 v53, -v131, s6                               // 000000004870: D1050035 20000D83
	v_exp_f32_e32 v50, v50                                     // 000000004878: 7E644132
	v_exp_f32_e32 v51, v51                                     // 00000000487C: 7E664133
	v_exp_f32_e32 v52, v52                                     // 000000004880: 7E684134
	v_exp_f32_e32 v53, v53                                     // 000000004884: 7E6A4135
	buffer_load_dwordx4 a[4:7], v42, s[12:15], 0 offen         // 000000004888: E05C1000 8083042A
	v_add_f32_e64 v50, v50, 1.0                                // 000000004890: D1010032 0001E532
	v_add_f32_e64 v51, v51, 1.0                                // 000000004898: D1010033 0001E533
	v_add_f32_e64 v52, v52, 1.0                                // 0000000048A0: D1010034 0001E534
	v_add_f32_e64 v53, v53, 1.0                                // 0000000048A8: D1010035 0001E535
	v_rcp_f32_e32 v50, v50                                     // 0000000048B0: 7E644532
	v_rcp_f32_e32 v51, v51                                     // 0000000048B4: 7E664533
	v_rcp_f32_e32 v52, v52                                     // 0000000048B8: 7E684534
	v_rcp_f32_e32 v53, v53                                     // 0000000048BC: 7E6A4535
	v_mul_f32_e32 v128, v128, v50                              // 0000000048C0: 0B006580
	v_mul_f32_e32 v129, v129, v51                              // 0000000048C4: 0B026781
	v_mul_f32_e32 v130, v130, v52                              // 0000000048C8: 0B046982
	v_mul_f32_e32 v131, v131, v53                              // 0000000048CC: 0B066B83
	buffer_load_dwordx4 a[8:11], v43, s[12:15], 0 offen        // 0000000048D0: E05C1000 8083082B
	v_mul_f32_e64 v50, -v132, s6                               // 0000000048D8: D1050032 20000D84
	v_mul_f32_e64 v51, -v133, s6                               // 0000000048E0: D1050033 20000D85
	v_mul_f32_e64 v52, -v134, s6                               // 0000000048E8: D1050034 20000D86
	v_mul_f32_e64 v53, -v135, s6                               // 0000000048F0: D1050035 20000D87
	v_exp_f32_e32 v50, v50                                     // 0000000048F8: 7E644132
	v_exp_f32_e32 v51, v51                                     // 0000000048FC: 7E664133
	v_exp_f32_e32 v52, v52                                     // 000000004900: 7E684134
	v_exp_f32_e32 v53, v53                                     // 000000004904: 7E6A4135
	buffer_load_dwordx4 a[12:15], v44, s[12:15], 0 offen       // 000000004908: E05C1000 80830C2C
	s_add_u32 s12, s78, s12                                    // 000000004910: 800C0C4E
	s_addc_u32 s13, 0, s13                                     // 000000004914: 820D0D80
	v_add_f32_e64 v50, v50, 1.0                                // 000000004918: D1010032 0001E532
	v_add_f32_e64 v51, v51, 1.0                                // 000000004920: D1010033 0001E533
	v_add_f32_e64 v52, v52, 1.0                                // 000000004928: D1010034 0001E534
	v_add_f32_e64 v53, v53, 1.0                                // 000000004930: D1010035 0001E535
	v_rcp_f32_e32 v50, v50                                     // 000000004938: 7E644532
	v_rcp_f32_e32 v51, v51                                     // 00000000493C: 7E664533
	v_rcp_f32_e32 v52, v52                                     // 000000004940: 7E684534
	v_rcp_f32_e32 v53, v53                                     // 000000004944: 7E6A4535
	v_mul_f32_e32 v132, v132, v50                              // 000000004948: 0B086584
	v_mul_f32_e32 v133, v133, v51                              // 00000000494C: 0B0A6785
	v_mul_f32_e32 v134, v134, v52                              // 000000004950: 0B0C6986
	v_mul_f32_e32 v135, v135, v53                              // 000000004954: 0B0E6B87
	s_waitcnt vmcnt(24)                                        // 000000004958: BF8C4F78
	buffer_load_dwordx4 a[16:19], v41, s[12:15], 0 offen       // 00000000495C: E05C1000 80831029
	v_mul_f32_e64 v50, -v136, s6                               // 000000004964: D1050032 20000D88
	v_mul_f32_e64 v51, -v137, s6                               // 00000000496C: D1050033 20000D89
	v_mul_f32_e64 v52, -v138, s6                               // 000000004974: D1050034 20000D8A
	v_mul_f32_e64 v53, -v139, s6                               // 00000000497C: D1050035 20000D8B
	v_exp_f32_e32 v50, v50                                     // 000000004984: 7E644132
	v_exp_f32_e32 v51, v51                                     // 000000004988: 7E664133
	v_exp_f32_e32 v52, v52                                     // 00000000498C: 7E684134
	v_exp_f32_e32 v53, v53                                     // 000000004990: 7E6A4135
	buffer_load_dwordx4 a[20:23], v42, s[12:15], 0 offen       // 000000004994: E05C1000 8083142A
	v_add_f32_e64 v50, v50, 1.0                                // 00000000499C: D1010032 0001E532
	v_add_f32_e64 v51, v51, 1.0                                // 0000000049A4: D1010033 0001E533
	v_add_f32_e64 v52, v52, 1.0                                // 0000000049AC: D1010034 0001E534
	v_add_f32_e64 v53, v53, 1.0                                // 0000000049B4: D1010035 0001E535
	v_rcp_f32_e32 v50, v50                                     // 0000000049BC: 7E644532
	v_rcp_f32_e32 v51, v51                                     // 0000000049C0: 7E664533
	v_rcp_f32_e32 v52, v52                                     // 0000000049C4: 7E684534
	v_rcp_f32_e32 v53, v53                                     // 0000000049C8: 7E6A4535
	v_mul_f32_e32 v136, v136, v50                              // 0000000049CC: 0B106588
	v_mul_f32_e32 v137, v137, v51                              // 0000000049D0: 0B126789
	v_mul_f32_e32 v138, v138, v52                              // 0000000049D4: 0B14698A
	v_mul_f32_e32 v139, v139, v53                              // 0000000049D8: 0B166B8B
	buffer_load_dwordx4 a[24:27], v43, s[12:15], 0 offen       // 0000000049DC: E05C1000 8083182B
	v_mul_f32_e64 v50, -v140, s6                               // 0000000049E4: D1050032 20000D8C
	v_mul_f32_e64 v51, -v141, s6                               // 0000000049EC: D1050033 20000D8D
	v_mul_f32_e64 v52, -v142, s6                               // 0000000049F4: D1050034 20000D8E
	v_mul_f32_e64 v53, -v143, s6                               // 0000000049FC: D1050035 20000D8F
	v_exp_f32_e32 v50, v50                                     // 000000004A04: 7E644132
	v_exp_f32_e32 v51, v51                                     // 000000004A08: 7E664133
	v_exp_f32_e32 v52, v52                                     // 000000004A0C: 7E684134
	v_exp_f32_e32 v53, v53                                     // 000000004A10: 7E6A4135
	buffer_load_dwordx4 a[28:31], v44, s[12:15], 0 offen       // 000000004A14: E05C1000 80831C2C
	s_add_u32 s12, s78, s12                                    // 000000004A1C: 800C0C4E
	s_addc_u32 s13, 0, s13                                     // 000000004A20: 820D0D80
	v_add_f32_e64 v50, v50, 1.0                                // 000000004A24: D1010032 0001E532
	v_add_f32_e64 v51, v51, 1.0                                // 000000004A2C: D1010033 0001E533
	v_add_f32_e64 v52, v52, 1.0                                // 000000004A34: D1010034 0001E534
	v_add_f32_e64 v53, v53, 1.0                                // 000000004A3C: D1010035 0001E535
	v_rcp_f32_e32 v50, v50                                     // 000000004A44: 7E644532
	v_rcp_f32_e32 v51, v51                                     // 000000004A48: 7E664533
	v_rcp_f32_e32 v52, v52                                     // 000000004A4C: 7E684534
	v_rcp_f32_e32 v53, v53                                     // 000000004A50: 7E6A4535
	v_mul_f32_e32 v140, v140, v50                              // 000000004A54: 0B18658C
	v_mul_f32_e32 v141, v141, v51                              // 000000004A58: 0B1A678D
	v_mul_f32_e32 v142, v142, v52                              // 000000004A5C: 0B1C698E
	v_mul_f32_e32 v143, v143, v53                              // 000000004A60: 0B1E6B8F
	s_waitcnt vmcnt(24)                                        // 000000004A64: BF8C4F78
	buffer_load_dwordx4 a[32:35], v41, s[12:15], 0 offen       // 000000004A68: E05C1000 80832029
	v_mul_f32_e64 v50, -v144, s6                               // 000000004A70: D1050032 20000D90
	v_mul_f32_e64 v51, -v145, s6                               // 000000004A78: D1050033 20000D91
	v_mul_f32_e64 v52, -v146, s6                               // 000000004A80: D1050034 20000D92
	v_mul_f32_e64 v53, -v147, s6                               // 000000004A88: D1050035 20000D93
	v_exp_f32_e32 v50, v50                                     // 000000004A90: 7E644132
	v_exp_f32_e32 v51, v51                                     // 000000004A94: 7E664133
	v_exp_f32_e32 v52, v52                                     // 000000004A98: 7E684134
	v_exp_f32_e32 v53, v53                                     // 000000004A9C: 7E6A4135
	buffer_load_dwordx4 a[36:39], v42, s[12:15], 0 offen       // 000000004AA0: E05C1000 8083242A
	v_add_f32_e64 v50, v50, 1.0                                // 000000004AA8: D1010032 0001E532
	v_add_f32_e64 v51, v51, 1.0                                // 000000004AB0: D1010033 0001E533
	v_add_f32_e64 v52, v52, 1.0                                // 000000004AB8: D1010034 0001E534
	v_add_f32_e64 v53, v53, 1.0                                // 000000004AC0: D1010035 0001E535
	v_rcp_f32_e32 v50, v50                                     // 000000004AC8: 7E644532
	v_rcp_f32_e32 v51, v51                                     // 000000004ACC: 7E664533
	v_rcp_f32_e32 v52, v52                                     // 000000004AD0: 7E684534
	v_rcp_f32_e32 v53, v53                                     // 000000004AD4: 7E6A4535
	v_mul_f32_e32 v144, v144, v50                              // 000000004AD8: 0B206590
	v_mul_f32_e32 v145, v145, v51                              // 000000004ADC: 0B226791
	v_mul_f32_e32 v146, v146, v52                              // 000000004AE0: 0B246992
	v_mul_f32_e32 v147, v147, v53                              // 000000004AE4: 0B266B93
	buffer_load_dwordx4 a[40:43], v43, s[12:15], 0 offen       // 000000004AE8: E05C1000 8083282B
	v_mul_f32_e64 v50, -v148, s6                               // 000000004AF0: D1050032 20000D94
	v_mul_f32_e64 v51, -v149, s6                               // 000000004AF8: D1050033 20000D95
	v_mul_f32_e64 v52, -v150, s6                               // 000000004B00: D1050034 20000D96
	v_mul_f32_e64 v53, -v151, s6                               // 000000004B08: D1050035 20000D97
	v_exp_f32_e32 v50, v50                                     // 000000004B10: 7E644132
	v_exp_f32_e32 v51, v51                                     // 000000004B14: 7E664133
	v_exp_f32_e32 v52, v52                                     // 000000004B18: 7E684134
	v_exp_f32_e32 v53, v53                                     // 000000004B1C: 7E6A4135
	buffer_load_dwordx4 a[44:47], v44, s[12:15], 0 offen       // 000000004B20: E05C1000 80832C2C
	s_add_u32 s12, s78, s12                                    // 000000004B28: 800C0C4E
	s_addc_u32 s13, 0, s13                                     // 000000004B2C: 820D0D80
	v_add_f32_e64 v50, v50, 1.0                                // 000000004B30: D1010032 0001E532
	v_add_f32_e64 v51, v51, 1.0                                // 000000004B38: D1010033 0001E533
	v_add_f32_e64 v52, v52, 1.0                                // 000000004B40: D1010034 0001E534
	v_add_f32_e64 v53, v53, 1.0                                // 000000004B48: D1010035 0001E535
	v_rcp_f32_e32 v50, v50                                     // 000000004B50: 7E644532
	v_rcp_f32_e32 v51, v51                                     // 000000004B54: 7E664533
	v_rcp_f32_e32 v52, v52                                     // 000000004B58: 7E684534
	v_rcp_f32_e32 v53, v53                                     // 000000004B5C: 7E6A4535
	v_mul_f32_e32 v148, v148, v50                              // 000000004B60: 0B286594
	v_mul_f32_e32 v149, v149, v51                              // 000000004B64: 0B2A6795
	v_mul_f32_e32 v150, v150, v52                              // 000000004B68: 0B2C6996
	v_mul_f32_e32 v151, v151, v53                              // 000000004B6C: 0B2E6B97
	s_waitcnt vmcnt(24)                                        // 000000004B70: BF8C4F78
	buffer_load_dwordx4 a[48:51], v41, s[12:15], 0 offen       // 000000004B74: E05C1000 80833029
	v_mul_f32_e64 v50, -v152, s6                               // 000000004B7C: D1050032 20000D98
	v_mul_f32_e64 v51, -v153, s6                               // 000000004B84: D1050033 20000D99
	v_mul_f32_e64 v52, -v154, s6                               // 000000004B8C: D1050034 20000D9A
	v_mul_f32_e64 v53, -v155, s6                               // 000000004B94: D1050035 20000D9B
	v_exp_f32_e32 v50, v50                                     // 000000004B9C: 7E644132
	v_exp_f32_e32 v51, v51                                     // 000000004BA0: 7E664133
	v_exp_f32_e32 v52, v52                                     // 000000004BA4: 7E684134
	v_exp_f32_e32 v53, v53                                     // 000000004BA8: 7E6A4135
	buffer_load_dwordx4 a[52:55], v42, s[12:15], 0 offen       // 000000004BAC: E05C1000 8083342A
	v_add_f32_e64 v50, v50, 1.0                                // 000000004BB4: D1010032 0001E532
	v_add_f32_e64 v51, v51, 1.0                                // 000000004BBC: D1010033 0001E533
	v_add_f32_e64 v52, v52, 1.0                                // 000000004BC4: D1010034 0001E534
	v_add_f32_e64 v53, v53, 1.0                                // 000000004BCC: D1010035 0001E535
	v_rcp_f32_e32 v50, v50                                     // 000000004BD4: 7E644532
	v_rcp_f32_e32 v51, v51                                     // 000000004BD8: 7E664533
	v_rcp_f32_e32 v52, v52                                     // 000000004BDC: 7E684534
	v_rcp_f32_e32 v53, v53                                     // 000000004BE0: 7E6A4535
	v_mul_f32_e32 v152, v152, v50                              // 000000004BE4: 0B306598
	v_mul_f32_e32 v153, v153, v51                              // 000000004BE8: 0B326799
	v_mul_f32_e32 v154, v154, v52                              // 000000004BEC: 0B34699A
	v_mul_f32_e32 v155, v155, v53                              // 000000004BF0: 0B366B9B
	buffer_load_dwordx4 a[56:59], v43, s[12:15], 0 offen       // 000000004BF4: E05C1000 8083382B
	v_mul_f32_e64 v50, -v156, s6                               // 000000004BFC: D1050032 20000D9C
	v_mul_f32_e64 v51, -v157, s6                               // 000000004C04: D1050033 20000D9D
	v_mul_f32_e64 v52, -v158, s6                               // 000000004C0C: D1050034 20000D9E
	v_mul_f32_e64 v53, -v159, s6                               // 000000004C14: D1050035 20000D9F
	v_exp_f32_e32 v50, v50                                     // 000000004C1C: 7E644132
	v_exp_f32_e32 v51, v51                                     // 000000004C20: 7E664133
	v_exp_f32_e32 v52, v52                                     // 000000004C24: 7E684134
	v_exp_f32_e32 v53, v53                                     // 000000004C28: 7E6A4135
	buffer_load_dwordx4 a[60:63], v44, s[12:15], 0 offen       // 000000004C2C: E05C1000 80833C2C
	s_add_u32 s12, s78, s12                                    // 000000004C34: 800C0C4E
	s_addc_u32 s13, 0, s13                                     // 000000004C38: 820D0D80
	v_add_f32_e64 v50, v50, 1.0                                // 000000004C3C: D1010032 0001E532
	v_add_f32_e64 v51, v51, 1.0                                // 000000004C44: D1010033 0001E533
	v_add_f32_e64 v52, v52, 1.0                                // 000000004C4C: D1010034 0001E534
	v_add_f32_e64 v53, v53, 1.0                                // 000000004C54: D1010035 0001E535
	v_rcp_f32_e32 v50, v50                                     // 000000004C5C: 7E644532
	v_rcp_f32_e32 v51, v51                                     // 000000004C60: 7E664533
	v_rcp_f32_e32 v52, v52                                     // 000000004C64: 7E684534
	v_rcp_f32_e32 v53, v53                                     // 000000004C68: 7E6A4535
	v_mul_f32_e32 v156, v156, v50                              // 000000004C6C: 0B38659C
	v_mul_f32_e32 v157, v157, v51                              // 000000004C70: 0B3A679D
	v_mul_f32_e32 v158, v158, v52                              // 000000004C74: 0B3C699E
	v_mul_f32_e32 v159, v159, v53                              // 000000004C78: 0B3E6B9F
	s_waitcnt vmcnt(24)                                        // 000000004C7C: BF8C4F78
	buffer_load_dwordx4 a[64:67], v41, s[12:15], 0 offen       // 000000004C80: E05C1000 80834029
	v_mul_f32_e64 v50, -v160, s6                               // 000000004C88: D1050032 20000DA0
	v_mul_f32_e64 v51, -v161, s6                               // 000000004C90: D1050033 20000DA1
	v_mul_f32_e64 v52, -v162, s6                               // 000000004C98: D1050034 20000DA2
	v_mul_f32_e64 v53, -v163, s6                               // 000000004CA0: D1050035 20000DA3
	v_exp_f32_e32 v50, v50                                     // 000000004CA8: 7E644132
	v_exp_f32_e32 v51, v51                                     // 000000004CAC: 7E664133
	v_exp_f32_e32 v52, v52                                     // 000000004CB0: 7E684134
	v_exp_f32_e32 v53, v53                                     // 000000004CB4: 7E6A4135
	buffer_load_dwordx4 a[68:71], v42, s[12:15], 0 offen       // 000000004CB8: E05C1000 8083442A
	v_add_f32_e64 v50, v50, 1.0                                // 000000004CC0: D1010032 0001E532
	v_add_f32_e64 v51, v51, 1.0                                // 000000004CC8: D1010033 0001E533
	v_add_f32_e64 v52, v52, 1.0                                // 000000004CD0: D1010034 0001E534
	v_add_f32_e64 v53, v53, 1.0                                // 000000004CD8: D1010035 0001E535
	v_rcp_f32_e32 v50, v50                                     // 000000004CE0: 7E644532
	v_rcp_f32_e32 v51, v51                                     // 000000004CE4: 7E664533
	v_rcp_f32_e32 v52, v52                                     // 000000004CE8: 7E684534
	v_rcp_f32_e32 v53, v53                                     // 000000004CEC: 7E6A4535
	v_mul_f32_e32 v160, v160, v50                              // 000000004CF0: 0B4065A0
	v_mul_f32_e32 v161, v161, v51                              // 000000004CF4: 0B4267A1
	v_mul_f32_e32 v162, v162, v52                              // 000000004CF8: 0B4469A2
	v_mul_f32_e32 v163, v163, v53                              // 000000004CFC: 0B466BA3
	buffer_load_dwordx4 a[72:75], v43, s[12:15], 0 offen       // 000000004D00: E05C1000 8083482B
	v_mul_f32_e64 v50, -v164, s6                               // 000000004D08: D1050032 20000DA4
	v_mul_f32_e64 v51, -v165, s6                               // 000000004D10: D1050033 20000DA5
	v_mul_f32_e64 v52, -v166, s6                               // 000000004D18: D1050034 20000DA6
	v_mul_f32_e64 v53, -v167, s6                               // 000000004D20: D1050035 20000DA7
	v_exp_f32_e32 v50, v50                                     // 000000004D28: 7E644132
	v_exp_f32_e32 v51, v51                                     // 000000004D2C: 7E664133
	v_exp_f32_e32 v52, v52                                     // 000000004D30: 7E684134
	v_exp_f32_e32 v53, v53                                     // 000000004D34: 7E6A4135
	buffer_load_dwordx4 a[76:79], v44, s[12:15], 0 offen       // 000000004D38: E05C1000 80834C2C
	s_add_u32 s12, s78, s12                                    // 000000004D40: 800C0C4E
	s_addc_u32 s13, 0, s13                                     // 000000004D44: 820D0D80
	v_add_f32_e64 v50, v50, 1.0                                // 000000004D48: D1010032 0001E532
	v_add_f32_e64 v51, v51, 1.0                                // 000000004D50: D1010033 0001E533
	v_add_f32_e64 v52, v52, 1.0                                // 000000004D58: D1010034 0001E534
	v_add_f32_e64 v53, v53, 1.0                                // 000000004D60: D1010035 0001E535
	v_rcp_f32_e32 v50, v50                                     // 000000004D68: 7E644532
	v_rcp_f32_e32 v51, v51                                     // 000000004D6C: 7E664533
	v_rcp_f32_e32 v52, v52                                     // 000000004D70: 7E684534
	v_rcp_f32_e32 v53, v53                                     // 000000004D74: 7E6A4535
	v_mul_f32_e32 v164, v164, v50                              // 000000004D78: 0B4865A4
	v_mul_f32_e32 v165, v165, v51                              // 000000004D7C: 0B4A67A5
	v_mul_f32_e32 v166, v166, v52                              // 000000004D80: 0B4C69A6
	v_mul_f32_e32 v167, v167, v53                              // 000000004D84: 0B4E6BA7
	s_waitcnt vmcnt(24)                                        // 000000004D88: BF8C4F78
	buffer_load_dwordx4 a[80:83], v41, s[12:15], 0 offen       // 000000004D8C: E05C1000 80835029
	v_mul_f32_e64 v50, -v168, s6                               // 000000004D94: D1050032 20000DA8
	v_mul_f32_e64 v51, -v169, s6                               // 000000004D9C: D1050033 20000DA9
	v_mul_f32_e64 v52, -v170, s6                               // 000000004DA4: D1050034 20000DAA
	v_mul_f32_e64 v53, -v171, s6                               // 000000004DAC: D1050035 20000DAB
	v_exp_f32_e32 v50, v50                                     // 000000004DB4: 7E644132
	v_exp_f32_e32 v51, v51                                     // 000000004DB8: 7E664133
	v_exp_f32_e32 v52, v52                                     // 000000004DBC: 7E684134
	v_exp_f32_e32 v53, v53                                     // 000000004DC0: 7E6A4135
	buffer_load_dwordx4 a[84:87], v42, s[12:15], 0 offen       // 000000004DC4: E05C1000 8083542A
	v_add_f32_e64 v50, v50, 1.0                                // 000000004DCC: D1010032 0001E532
	v_add_f32_e64 v51, v51, 1.0                                // 000000004DD4: D1010033 0001E533
	v_add_f32_e64 v52, v52, 1.0                                // 000000004DDC: D1010034 0001E534
	v_add_f32_e64 v53, v53, 1.0                                // 000000004DE4: D1010035 0001E535
	v_rcp_f32_e32 v50, v50                                     // 000000004DEC: 7E644532
	v_rcp_f32_e32 v51, v51                                     // 000000004DF0: 7E664533
	v_rcp_f32_e32 v52, v52                                     // 000000004DF4: 7E684534
	v_rcp_f32_e32 v53, v53                                     // 000000004DF8: 7E6A4535
	v_mul_f32_e32 v168, v168, v50                              // 000000004DFC: 0B5065A8
	v_mul_f32_e32 v169, v169, v51                              // 000000004E00: 0B5267A9
	v_mul_f32_e32 v170, v170, v52                              // 000000004E04: 0B5469AA
	v_mul_f32_e32 v171, v171, v53                              // 000000004E08: 0B566BAB
	buffer_load_dwordx4 a[88:91], v43, s[12:15], 0 offen       // 000000004E0C: E05C1000 8083582B
	v_mul_f32_e64 v50, -v172, s6                               // 000000004E14: D1050032 20000DAC
	v_mul_f32_e64 v51, -v173, s6                               // 000000004E1C: D1050033 20000DAD
	v_mul_f32_e64 v52, -v174, s6                               // 000000004E24: D1050034 20000DAE
	v_mul_f32_e64 v53, -v175, s6                               // 000000004E2C: D1050035 20000DAF
	v_exp_f32_e32 v50, v50                                     // 000000004E34: 7E644132
	v_exp_f32_e32 v51, v51                                     // 000000004E38: 7E664133
	v_exp_f32_e32 v52, v52                                     // 000000004E3C: 7E684134
	v_exp_f32_e32 v53, v53                                     // 000000004E40: 7E6A4135
	buffer_load_dwordx4 a[92:95], v44, s[12:15], 0 offen       // 000000004E44: E05C1000 80835C2C
	s_add_u32 s12, s78, s12                                    // 000000004E4C: 800C0C4E
	s_addc_u32 s13, 0, s13                                     // 000000004E50: 820D0D80
	v_add_f32_e64 v50, v50, 1.0                                // 000000004E54: D1010032 0001E532
	v_add_f32_e64 v51, v51, 1.0                                // 000000004E5C: D1010033 0001E533
	v_add_f32_e64 v52, v52, 1.0                                // 000000004E64: D1010034 0001E534
	v_add_f32_e64 v53, v53, 1.0                                // 000000004E6C: D1010035 0001E535
	v_rcp_f32_e32 v50, v50                                     // 000000004E74: 7E644532
	v_rcp_f32_e32 v51, v51                                     // 000000004E78: 7E664533
	v_rcp_f32_e32 v52, v52                                     // 000000004E7C: 7E684534
	v_rcp_f32_e32 v53, v53                                     // 000000004E80: 7E6A4535
	v_mul_f32_e32 v172, v172, v50                              // 000000004E84: 0B5865AC
	v_mul_f32_e32 v173, v173, v51                              // 000000004E88: 0B5A67AD
	v_mul_f32_e32 v174, v174, v52                              // 000000004E8C: 0B5C69AE
	v_mul_f32_e32 v175, v175, v53                              // 000000004E90: 0B5E6BAF
	s_waitcnt vmcnt(24)                                        // 000000004E94: BF8C4F78
	buffer_load_dwordx4 a[96:99], v41, s[12:15], 0 offen       // 000000004E98: E05C1000 80836029
	v_mul_f32_e64 v50, -v176, s6                               // 000000004EA0: D1050032 20000DB0
	v_mul_f32_e64 v51, -v177, s6                               // 000000004EA8: D1050033 20000DB1
	v_mul_f32_e64 v52, -v178, s6                               // 000000004EB0: D1050034 20000DB2
	v_mul_f32_e64 v53, -v179, s6                               // 000000004EB8: D1050035 20000DB3
	v_exp_f32_e32 v50, v50                                     // 000000004EC0: 7E644132
	v_exp_f32_e32 v51, v51                                     // 000000004EC4: 7E664133
	v_exp_f32_e32 v52, v52                                     // 000000004EC8: 7E684134
	v_exp_f32_e32 v53, v53                                     // 000000004ECC: 7E6A4135
	buffer_load_dwordx4 a[100:103], v42, s[12:15], 0 offen     // 000000004ED0: E05C1000 8083642A
	v_add_f32_e64 v50, v50, 1.0                                // 000000004ED8: D1010032 0001E532
	v_add_f32_e64 v51, v51, 1.0                                // 000000004EE0: D1010033 0001E533
	v_add_f32_e64 v52, v52, 1.0                                // 000000004EE8: D1010034 0001E534
	v_add_f32_e64 v53, v53, 1.0                                // 000000004EF0: D1010035 0001E535
	v_rcp_f32_e32 v50, v50                                     // 000000004EF8: 7E644532
	v_rcp_f32_e32 v51, v51                                     // 000000004EFC: 7E664533
	v_rcp_f32_e32 v52, v52                                     // 000000004F00: 7E684534
	v_rcp_f32_e32 v53, v53                                     // 000000004F04: 7E6A4535
	v_mul_f32_e32 v176, v176, v50                              // 000000004F08: 0B6065B0
	v_mul_f32_e32 v177, v177, v51                              // 000000004F0C: 0B6267B1
	v_mul_f32_e32 v178, v178, v52                              // 000000004F10: 0B6469B2
	v_mul_f32_e32 v179, v179, v53                              // 000000004F14: 0B666BB3
	buffer_load_dwordx4 a[104:107], v43, s[12:15], 0 offen     // 000000004F18: E05C1000 8083682B
	v_mul_f32_e64 v50, -v180, s6                               // 000000004F20: D1050032 20000DB4
	v_mul_f32_e64 v51, -v181, s6                               // 000000004F28: D1050033 20000DB5
	v_mul_f32_e64 v52, -v182, s6                               // 000000004F30: D1050034 20000DB6
	v_mul_f32_e64 v53, -v183, s6                               // 000000004F38: D1050035 20000DB7
	v_exp_f32_e32 v50, v50                                     // 000000004F40: 7E644132
	v_exp_f32_e32 v51, v51                                     // 000000004F44: 7E664133
	v_exp_f32_e32 v52, v52                                     // 000000004F48: 7E684134
	v_exp_f32_e32 v53, v53                                     // 000000004F4C: 7E6A4135
	buffer_load_dwordx4 a[108:111], v44, s[12:15], 0 offen     // 000000004F50: E05C1000 80836C2C
	v_add_f32_e64 v50, v50, 1.0                                // 000000004F58: D1010032 0001E532
	v_add_f32_e64 v51, v51, 1.0                                // 000000004F60: D1010033 0001E533
	v_add_f32_e64 v52, v52, 1.0                                // 000000004F68: D1010034 0001E534
	v_add_f32_e64 v53, v53, 1.0                                // 000000004F70: D1010035 0001E535
	v_rcp_f32_e32 v50, v50                                     // 000000004F78: 7E644532
	v_rcp_f32_e32 v51, v51                                     // 000000004F7C: 7E664533
	v_rcp_f32_e32 v52, v52                                     // 000000004F80: 7E684534
	v_rcp_f32_e32 v53, v53                                     // 000000004F84: 7E6A4535
	v_mul_f32_e32 v180, v180, v50                              // 000000004F88: 0B6865B4
	v_mul_f32_e32 v181, v181, v51                              // 000000004F8C: 0B6A67B5
	v_mul_f32_e32 v182, v182, v52                              // 000000004F90: 0B6C69B6
	v_mul_f32_e32 v183, v183, v53                              // 000000004F94: 0B6E6BB7
	v_mul_f32_dpp v128, v18, v128 row_newbcast:0 row_mask:0xf bank_mask:0xf// 000000004F98: 0B0100FA FF015012
	v_mul_f32_dpp v129, v18, v129 row_newbcast:1 row_mask:0xf bank_mask:0xf// 000000004FA0: 0B0302FA FF015112
	v_mul_f32_dpp v130, v18, v130 row_newbcast:2 row_mask:0xf bank_mask:0xf// 000000004FA8: 0B0504FA FF015212
	v_mul_f32_dpp v131, v18, v131 row_newbcast:3 row_mask:0xf bank_mask:0xf// 000000004FB0: 0B0706FA FF015312
	v_mul_f32_dpp v132, v18, v132 row_newbcast:0 row_mask:0xf bank_mask:0xf// 000000004FB8: 0B0908FA FF015012
	v_mul_f32_dpp v133, v18, v133 row_newbcast:1 row_mask:0xf bank_mask:0xf// 000000004FC0: 0B0B0AFA FF015112
	v_mul_f32_dpp v134, v18, v134 row_newbcast:2 row_mask:0xf bank_mask:0xf// 000000004FC8: 0B0D0CFA FF015212
	v_mul_f32_dpp v135, v18, v135 row_newbcast:3 row_mask:0xf bank_mask:0xf// 000000004FD0: 0B0F0EFA FF015312
	v_mul_f32_dpp v136, v18, v136 row_newbcast:4 row_mask:0xf bank_mask:0xf// 000000004FD8: 0B1110FA FF015412
	v_mul_f32_dpp v137, v18, v137 row_newbcast:5 row_mask:0xf bank_mask:0xf// 000000004FE0: 0B1312FA FF015512
	v_mul_f32_dpp v138, v18, v138 row_newbcast:6 row_mask:0xf bank_mask:0xf// 000000004FE8: 0B1514FA FF015612
	v_mul_f32_dpp v139, v18, v139 row_newbcast:7 row_mask:0xf bank_mask:0xf// 000000004FF0: 0B1716FA FF015712
	v_mul_f32_dpp v140, v18, v140 row_newbcast:4 row_mask:0xf bank_mask:0xf// 000000004FF8: 0B1918FA FF015412
	v_mul_f32_dpp v141, v18, v141 row_newbcast:5 row_mask:0xf bank_mask:0xf// 000000005000: 0B1B1AFA FF015512
	v_mul_f32_dpp v142, v18, v142 row_newbcast:6 row_mask:0xf bank_mask:0xf// 000000005008: 0B1D1CFA FF015612
	v_mul_f32_dpp v143, v18, v143 row_newbcast:7 row_mask:0xf bank_mask:0xf// 000000005010: 0B1F1EFA FF015712
	v_mul_f32_dpp v144, v18, v144 row_newbcast:8 row_mask:0xf bank_mask:0xf// 000000005018: 0B2120FA FF015812
	v_mul_f32_dpp v145, v18, v145 row_newbcast:9 row_mask:0xf bank_mask:0xf// 000000005020: 0B2322FA FF015912
	v_mul_f32_dpp v146, v18, v146 row_newbcast:10 row_mask:0xf bank_mask:0xf// 000000005028: 0B2524FA FF015A12
	v_mul_f32_dpp v147, v18, v147 row_newbcast:11 row_mask:0xf bank_mask:0xf// 000000005030: 0B2726FA FF015B12
	v_mul_f32_dpp v148, v18, v148 row_newbcast:8 row_mask:0xf bank_mask:0xf// 000000005038: 0B2928FA FF015812
	v_mul_f32_dpp v149, v18, v149 row_newbcast:9 row_mask:0xf bank_mask:0xf// 000000005040: 0B2B2AFA FF015912
	v_mul_f32_dpp v150, v18, v150 row_newbcast:10 row_mask:0xf bank_mask:0xf// 000000005048: 0B2D2CFA FF015A12
	v_mul_f32_dpp v151, v18, v151 row_newbcast:11 row_mask:0xf bank_mask:0xf// 000000005050: 0B2F2EFA FF015B12
	v_mul_f32_dpp v152, v18, v152 row_newbcast:12 row_mask:0xf bank_mask:0xf// 000000005058: 0B3130FA FF015C12
	v_mul_f32_dpp v153, v18, v153 row_newbcast:13 row_mask:0xf bank_mask:0xf// 000000005060: 0B3332FA FF015D12
	v_mul_f32_dpp v154, v18, v154 row_newbcast:14 row_mask:0xf bank_mask:0xf// 000000005068: 0B3534FA FF015E12
	v_mul_f32_dpp v155, v18, v155 row_newbcast:15 row_mask:0xf bank_mask:0xf// 000000005070: 0B3736FA FF015F12
	v_mul_f32_dpp v156, v18, v156 row_newbcast:12 row_mask:0xf bank_mask:0xf// 000000005078: 0B3938FA FF015C12
	v_mul_f32_dpp v157, v18, v157 row_newbcast:13 row_mask:0xf bank_mask:0xf// 000000005080: 0B3B3AFA FF015D12
	v_mul_f32_dpp v158, v18, v158 row_newbcast:14 row_mask:0xf bank_mask:0xf// 000000005088: 0B3D3CFA FF015E12
	v_mul_f32_dpp v159, v18, v159 row_newbcast:15 row_mask:0xf bank_mask:0xf// 000000005090: 0B3F3EFA FF015F12
	v_mul_f32_dpp v160, v19, v160 row_newbcast:0 row_mask:0xf bank_mask:0xf// 000000005098: 0B4140FA FF015013
	v_mul_f32_dpp v161, v19, v161 row_newbcast:1 row_mask:0xf bank_mask:0xf// 0000000050A0: 0B4342FA FF015113
	v_mul_f32_dpp v162, v19, v162 row_newbcast:2 row_mask:0xf bank_mask:0xf// 0000000050A8: 0B4544FA FF015213
	v_mul_f32_dpp v163, v19, v163 row_newbcast:3 row_mask:0xf bank_mask:0xf// 0000000050B0: 0B4746FA FF015313
	v_mul_f32_dpp v164, v19, v164 row_newbcast:0 row_mask:0xf bank_mask:0xf// 0000000050B8: 0B4948FA FF015013
	v_mul_f32_dpp v165, v19, v165 row_newbcast:1 row_mask:0xf bank_mask:0xf// 0000000050C0: 0B4B4AFA FF015113
	v_mul_f32_dpp v166, v19, v166 row_newbcast:2 row_mask:0xf bank_mask:0xf// 0000000050C8: 0B4D4CFA FF015213
	v_mul_f32_dpp v167, v19, v167 row_newbcast:3 row_mask:0xf bank_mask:0xf// 0000000050D0: 0B4F4EFA FF015313
	v_mul_f32_dpp v168, v19, v168 row_newbcast:4 row_mask:0xf bank_mask:0xf// 0000000050D8: 0B5150FA FF015413
	v_mul_f32_dpp v169, v19, v169 row_newbcast:5 row_mask:0xf bank_mask:0xf// 0000000050E0: 0B5352FA FF015513
	v_mul_f32_dpp v170, v19, v170 row_newbcast:6 row_mask:0xf bank_mask:0xf// 0000000050E8: 0B5554FA FF015613
	v_mul_f32_dpp v171, v19, v171 row_newbcast:7 row_mask:0xf bank_mask:0xf// 0000000050F0: 0B5756FA FF015713
	v_mul_f32_dpp v172, v19, v172 row_newbcast:4 row_mask:0xf bank_mask:0xf// 0000000050F8: 0B5958FA FF015413
	v_mul_f32_dpp v173, v19, v173 row_newbcast:5 row_mask:0xf bank_mask:0xf// 000000005100: 0B5B5AFA FF015513
	v_mul_f32_dpp v174, v19, v174 row_newbcast:6 row_mask:0xf bank_mask:0xf// 000000005108: 0B5D5CFA FF015613
	v_mul_f32_dpp v175, v19, v175 row_newbcast:7 row_mask:0xf bank_mask:0xf// 000000005110: 0B5F5EFA FF015713
	v_mul_f32_dpp v176, v19, v176 row_newbcast:8 row_mask:0xf bank_mask:0xf// 000000005118: 0B6160FA FF015813
	v_mul_f32_dpp v177, v19, v177 row_newbcast:9 row_mask:0xf bank_mask:0xf// 000000005120: 0B6362FA FF015913
	v_mul_f32_dpp v178, v19, v178 row_newbcast:10 row_mask:0xf bank_mask:0xf// 000000005128: 0B6564FA FF015A13
	v_mul_f32_dpp v179, v19, v179 row_newbcast:11 row_mask:0xf bank_mask:0xf// 000000005130: 0B6766FA FF015B13
	v_mul_f32_dpp v180, v19, v180 row_newbcast:8 row_mask:0xf bank_mask:0xf// 000000005138: 0B6968FA FF015813
	v_mul_f32_dpp v181, v19, v181 row_newbcast:9 row_mask:0xf bank_mask:0xf// 000000005140: 0B6B6AFA FF015913
	v_mul_f32_dpp v182, v19, v182 row_newbcast:10 row_mask:0xf bank_mask:0xf// 000000005148: 0B6D6CFA FF015A13
	v_mul_f32_dpp v183, v19, v183 row_newbcast:11 row_mask:0xf bank_mask:0xf// 000000005150: 0B6F6EFA FF015B13
	buffer_load_dword v12, v5, s[16:19], 0 offen               // 000000005158: E0501000 80040C05
	v_mov_b32_e32 v22, 0x358637bd                              // 000000005160: 7E2C02FF 358637BD
	v_mov_b32_e32 v23, 0x358637bd                              // 000000005168: 7E2E02FF 358637BD
	v_max3_f32 v22, |v128|, |v129|, v22                        // 000000005170: D1D30316 045B0380
	v_max3_f32 v22, |v130|, |v131|, v22                        // 000000005178: D1D30316 045B0782
	v_max3_f32 v23, |v132|, |v133|, v23                        // 000000005180: D1D30317 045F0B84
	v_max3_f32 v23, |v134|, |v135|, v23                        // 000000005188: D1D30317 045F0F86
	v_max3_f32 v22, |v136|, |v137|, v22                        // 000000005190: D1D30316 045B1388
	v_max3_f32 v22, |v138|, |v139|, v22                        // 000000005198: D1D30316 045B178A
	v_max3_f32 v23, |v140|, |v141|, v23                        // 0000000051A0: D1D30317 045F1B8C
	v_max3_f32 v23, |v142|, |v143|, v23                        // 0000000051A8: D1D30317 045F1F8E
	v_max3_f32 v22, |v144|, |v145|, v22                        // 0000000051B0: D1D30316 045B2390
	v_max3_f32 v22, |v146|, |v147|, v22                        // 0000000051B8: D1D30316 045B2792
	v_max3_f32 v23, |v148|, |v149|, v23                        // 0000000051C0: D1D30317 045F2B94
	v_max3_f32 v23, |v150|, |v151|, v23                        // 0000000051C8: D1D30317 045F2F96
	v_max3_f32 v22, |v152|, |v153|, v22                        // 0000000051D0: D1D30316 045B3398
	v_max3_f32 v22, |v154|, |v155|, v22                        // 0000000051D8: D1D30316 045B379A
	v_max3_f32 v23, |v156|, |v157|, v23                        // 0000000051E0: D1D30317 045F3B9C
	v_max3_f32 v23, |v158|, |v159|, v23                        // 0000000051E8: D1D30317 045F3F9E
	v_max3_f32 v22, |v160|, |v161|, v22                        // 0000000051F0: D1D30316 045B43A0
	v_max3_f32 v22, |v162|, |v163|, v22                        // 0000000051F8: D1D30316 045B47A2
	v_max3_f32 v23, |v164|, |v165|, v23                        // 000000005200: D1D30317 045F4BA4
	v_max3_f32 v23, |v166|, |v167|, v23                        // 000000005208: D1D30317 045F4FA6
	v_max3_f32 v22, |v168|, |v169|, v22                        // 000000005210: D1D30316 045B53A8
	v_max3_f32 v22, |v170|, |v171|, v22                        // 000000005218: D1D30316 045B57AA
	v_max3_f32 v23, |v172|, |v173|, v23                        // 000000005220: D1D30317 045F5BAC
	v_max3_f32 v23, |v174|, |v175|, v23                        // 000000005228: D1D30317 045F5FAE
	v_max3_f32 v22, |v176|, |v177|, v22                        // 000000005230: D1D30316 045B63B0
	v_max3_f32 v22, |v178|, |v179|, v22                        // 000000005238: D1D30316 045B67B2
	v_max3_f32 v23, |v180|, |v181|, v23                        // 000000005240: D1D30317 045F6BB4
	v_max3_f32 v23, |v182|, |v183|, v23                        // 000000005248: D1D30317 045F6FB6
	v_lshlrev_b32_e32 v50, 3, v0                               // 000000005250: 24640083
	s_mul_i32 s60, 0x200, s7                                   // 000000005254: 923C07FF 00000200
	v_add_u32_e32 v50, s60, v50                                // 00000000525C: 6864643C
	ds_write_b64 v50, v[22:23] offset:16640                    // 000000005260: D89A4100 00001632
	s_waitcnt lgkmcnt(0)                                       // 000000005268: BF8CC07F
	s_barrier                                                  // 00000000526C: BF8A0000
	v_and_b32_e32 v50, 15, v0                                  // 000000005270: 2664008F
	v_lshlrev_b32_e32 v50, 3, v50                              // 000000005274: 24646483
	ds_read_b64 v[96:97], v50 offset:16640                     // 000000005278: D8EC4100 60000032
	ds_read_b64 v[98:99], v50 offset:16768                     // 000000005280: D8EC4180 62000032
	ds_read_b64 v[100:101], v50 offset:16896                   // 000000005288: D8EC4200 64000032
	ds_read_b64 v[102:103], v50 offset:17024                   // 000000005290: D8EC4280 66000032
	ds_read_b64 v[104:105], v50 offset:17152                   // 000000005298: D8EC4300 68000032
	ds_read_b64 v[106:107], v50 offset:17280                   // 0000000052A0: D8EC4380 6A000032
	ds_read_b64 v[108:109], v50 offset:17408                   // 0000000052A8: D8EC4400 6C000032
	ds_read_b64 v[110:111], v50 offset:17536                   // 0000000052B0: D8EC4480 6E000032
	ds_read_b64 v[112:113], v50 offset:17664                   // 0000000052B8: D8EC4500 70000032
	ds_read_b64 v[114:115], v50 offset:17792                   // 0000000052C0: D8EC4580 72000032
	ds_read_b64 v[116:117], v50 offset:17920                   // 0000000052C8: D8EC4600 74000032
	ds_read_b64 v[118:119], v50 offset:18048                   // 0000000052D0: D8EC4680 76000032
	ds_read_b64 v[120:121], v50 offset:18176                   // 0000000052D8: D8EC4700 78000032
	ds_read_b64 v[122:123], v50 offset:18304                   // 0000000052E0: D8EC4780 7A000032
	ds_read_b64 v[124:125], v50 offset:18432                   // 0000000052E8: D8EC4800 7C000032
	ds_read_b64 v[126:127], v50 offset:18560                   // 0000000052F0: D8EC4880 7E000032
	s_waitcnt lgkmcnt(0)                                       // 0000000052F8: BF8CC07F
	v_max3_f32 v22, |v96|, |v98|, v22                          // 0000000052FC: D1D30316 045AC560
	v_max3_f32 v23, |v97|, |v99|, v23                          // 000000005304: D1D30317 045EC761
	v_max3_f32 v22, |v100|, |v102|, v22                        // 00000000530C: D1D30316 045ACD64
	v_max3_f32 v23, |v101|, |v103|, v23                        // 000000005314: D1D30317 045ECF65
	v_max3_f32 v22, |v104|, |v106|, v22                        // 00000000531C: D1D30316 045AD568
	v_max3_f32 v23, |v105|, |v107|, v23                        // 000000005324: D1D30317 045ED769
	v_max3_f32 v22, |v108|, |v110|, v22                        // 00000000532C: D1D30316 045ADD6C
	v_max3_f32 v23, |v109|, |v111|, v23                        // 000000005334: D1D30317 045EDF6D
	v_max3_f32 v22, |v112|, |v114|, v22                        // 00000000533C: D1D30316 045AE570
	v_max3_f32 v23, |v113|, |v115|, v23                        // 000000005344: D1D30317 045EE771
	v_max3_f32 v22, |v116|, |v118|, v22                        // 00000000534C: D1D30316 045AED74
	v_max3_f32 v23, |v117|, |v119|, v23                        // 000000005354: D1D30317 045EEF75
	v_max3_f32 v22, |v120|, |v122|, v22                        // 00000000535C: D1D30316 045AF578
	v_max3_f32 v23, |v121|, |v123|, v23                        // 000000005364: D1D30317 045EF779
	v_max3_f32 v22, |v124|, |v126|, v22                        // 00000000536C: D1D30316 045AFD7C
	v_max3_f32 v23, |v125|, |v127|, v23                        // 000000005374: D1D30317 045EFF7D
	v_rcp_f32_e32 v22, v22                                     // 00000000537C: 7E2C4516
	v_rcp_f32_e32 v23, v23                                     // 000000005380: 7E2E4517
	v_mul_f32_e32 v22, 0x42fe0000, v22                         // 000000005384: 0A2C2CFF 42FE0000
	v_mul_f32_e32 v23, 0x42fe0000, v23                         // 00000000538C: 0A2E2EFF 42FE0000
	v_mul_f32_e32 v128, v22, v128                              // 000000005394: 0B010116
	v_mul_f32_e32 v129, v22, v129                              // 000000005398: 0B030316
	v_mul_f32_e32 v130, v22, v130                              // 00000000539C: 0B050516
	v_mul_f32_e32 v131, v22, v131                              // 0000000053A0: 0B070716
	v_cvt_i32_f32_e32 v128, v128                               // 0000000053A4: 7F001180
	v_cvt_i32_f32_e32 v129, v129                               // 0000000053A8: 7F021181
	v_cvt_i32_f32_e32 v130, v130                               // 0000000053AC: 7F041182
	v_cvt_i32_f32_e32 v131, v131                               // 0000000053B0: 7F061183
	v_perm_b32 v128, v129, v128, s53                           // 0000000053B4: D1ED0080 00D70181
	v_perm_b32 v128, v130, v128, s54                           // 0000000053BC: D1ED0080 00DB0182
	v_perm_b32 v128, v131, v128, s55                           // 0000000053C4: D1ED0080 00DF0183
	v_mul_f32_e32 v132, v23, v132                              // 0000000053CC: 0B090917
	v_mul_f32_e32 v133, v23, v133                              // 0000000053D0: 0B0B0B17
	v_mul_f32_e32 v134, v23, v134                              // 0000000053D4: 0B0D0D17
	v_mul_f32_e32 v135, v23, v135                              // 0000000053D8: 0B0F0F17
	v_cvt_i32_f32_e32 v132, v132                               // 0000000053DC: 7F081184
	v_cvt_i32_f32_e32 v133, v133                               // 0000000053E0: 7F0A1185
	v_cvt_i32_f32_e32 v134, v134                               // 0000000053E4: 7F0C1186
	v_cvt_i32_f32_e32 v135, v135                               // 0000000053E8: 7F0E1187
	v_perm_b32 v129, v133, v132, s53                           // 0000000053EC: D1ED0081 00D70985
	v_perm_b32 v129, v134, v129, s54                           // 0000000053F4: D1ED0081 00DB0386
	v_perm_b32 v129, v135, v129, s55                           // 0000000053FC: D1ED0081 00DF0387
	v_mul_f32_e32 v136, v22, v136                              // 000000005404: 0B111116
	v_mul_f32_e32 v137, v22, v137                              // 000000005408: 0B131316
	v_mul_f32_e32 v138, v22, v138                              // 00000000540C: 0B151516
	v_mul_f32_e32 v139, v22, v139                              // 000000005410: 0B171716
	v_cvt_i32_f32_e32 v136, v136                               // 000000005414: 7F101188
	v_cvt_i32_f32_e32 v137, v137                               // 000000005418: 7F121189
	v_cvt_i32_f32_e32 v138, v138                               // 00000000541C: 7F14118A
	v_cvt_i32_f32_e32 v139, v139                               // 000000005420: 7F16118B
	v_perm_b32 v130, v137, v136, s53                           // 000000005424: D1ED0082 00D71189
	v_perm_b32 v130, v138, v130, s54                           // 00000000542C: D1ED0082 00DB058A
	v_perm_b32 v130, v139, v130, s55                           // 000000005434: D1ED0082 00DF058B
	v_mul_f32_e32 v140, v23, v140                              // 00000000543C: 0B191917
	v_mul_f32_e32 v141, v23, v141                              // 000000005440: 0B1B1B17
	v_mul_f32_e32 v142, v23, v142                              // 000000005444: 0B1D1D17
	v_mul_f32_e32 v143, v23, v143                              // 000000005448: 0B1F1F17
	v_cvt_i32_f32_e32 v140, v140                               // 00000000544C: 7F18118C
	v_cvt_i32_f32_e32 v141, v141                               // 000000005450: 7F1A118D
	v_cvt_i32_f32_e32 v142, v142                               // 000000005454: 7F1C118E
	v_cvt_i32_f32_e32 v143, v143                               // 000000005458: 7F1E118F
	v_perm_b32 v131, v141, v140, s53                           // 00000000545C: D1ED0083 00D7198D
	v_perm_b32 v131, v142, v131, s54                           // 000000005464: D1ED0083 00DB078E
	v_perm_b32 v131, v143, v131, s55                           // 00000000546C: D1ED0083 00DF078F
	v_mul_f32_e32 v144, v22, v144                              // 000000005474: 0B212116
	v_mul_f32_e32 v145, v22, v145                              // 000000005478: 0B232316
	v_mul_f32_e32 v146, v22, v146                              // 00000000547C: 0B252516
	v_mul_f32_e32 v147, v22, v147                              // 000000005480: 0B272716
	v_cvt_i32_f32_e32 v144, v144                               // 000000005484: 7F201190
	v_cvt_i32_f32_e32 v145, v145                               // 000000005488: 7F221191
	v_cvt_i32_f32_e32 v146, v146                               // 00000000548C: 7F241192
	v_cvt_i32_f32_e32 v147, v147                               // 000000005490: 7F261193
	v_perm_b32 v132, v145, v144, s53                           // 000000005494: D1ED0084 00D72191
	v_perm_b32 v132, v146, v132, s54                           // 00000000549C: D1ED0084 00DB0992
	v_perm_b32 v132, v147, v132, s55                           // 0000000054A4: D1ED0084 00DF0993
	v_mul_f32_e32 v148, v23, v148                              // 0000000054AC: 0B292917
	v_mul_f32_e32 v149, v23, v149                              // 0000000054B0: 0B2B2B17
	v_mul_f32_e32 v150, v23, v150                              // 0000000054B4: 0B2D2D17
	v_mul_f32_e32 v151, v23, v151                              // 0000000054B8: 0B2F2F17
	v_cvt_i32_f32_e32 v148, v148                               // 0000000054BC: 7F281194
	v_cvt_i32_f32_e32 v149, v149                               // 0000000054C0: 7F2A1195
	v_cvt_i32_f32_e32 v150, v150                               // 0000000054C4: 7F2C1196
	v_cvt_i32_f32_e32 v151, v151                               // 0000000054C8: 7F2E1197
	v_perm_b32 v133, v149, v148, s53                           // 0000000054CC: D1ED0085 00D72995
	v_perm_b32 v133, v150, v133, s54                           // 0000000054D4: D1ED0085 00DB0B96
	v_perm_b32 v133, v151, v133, s55                           // 0000000054DC: D1ED0085 00DF0B97
	v_mul_f32_e32 v152, v22, v152                              // 0000000054E4: 0B313116
	v_mul_f32_e32 v153, v22, v153                              // 0000000054E8: 0B333316
	v_mul_f32_e32 v154, v22, v154                              // 0000000054EC: 0B353516
	v_mul_f32_e32 v155, v22, v155                              // 0000000054F0: 0B373716
	v_cvt_i32_f32_e32 v152, v152                               // 0000000054F4: 7F301198
	v_cvt_i32_f32_e32 v153, v153                               // 0000000054F8: 7F321199
	v_cvt_i32_f32_e32 v154, v154                               // 0000000054FC: 7F34119A
	v_cvt_i32_f32_e32 v155, v155                               // 000000005500: 7F36119B
	v_perm_b32 v134, v153, v152, s53                           // 000000005504: D1ED0086 00D73199
	v_perm_b32 v134, v154, v134, s54                           // 00000000550C: D1ED0086 00DB0D9A
	v_perm_b32 v134, v155, v134, s55                           // 000000005514: D1ED0086 00DF0D9B
	v_mul_f32_e32 v156, v23, v156                              // 00000000551C: 0B393917
	v_mul_f32_e32 v157, v23, v157                              // 000000005520: 0B3B3B17
	v_mul_f32_e32 v158, v23, v158                              // 000000005524: 0B3D3D17
	v_mul_f32_e32 v159, v23, v159                              // 000000005528: 0B3F3F17
	v_cvt_i32_f32_e32 v156, v156                               // 00000000552C: 7F38119C
	v_cvt_i32_f32_e32 v157, v157                               // 000000005530: 7F3A119D
	v_cvt_i32_f32_e32 v158, v158                               // 000000005534: 7F3C119E
	v_cvt_i32_f32_e32 v159, v159                               // 000000005538: 7F3E119F
	v_perm_b32 v135, v157, v156, s53                           // 00000000553C: D1ED0087 00D7399D
	v_perm_b32 v135, v158, v135, s54                           // 000000005544: D1ED0087 00DB0F9E
	v_perm_b32 v135, v159, v135, s55                           // 00000000554C: D1ED0087 00DF0F9F
	v_mul_f32_e32 v160, v22, v160                              // 000000005554: 0B414116
	v_mul_f32_e32 v161, v22, v161                              // 000000005558: 0B434316
	v_mul_f32_e32 v162, v22, v162                              // 00000000555C: 0B454516
	v_mul_f32_e32 v163, v22, v163                              // 000000005560: 0B474716
	v_cvt_i32_f32_e32 v160, v160                               // 000000005564: 7F4011A0
	v_cvt_i32_f32_e32 v161, v161                               // 000000005568: 7F4211A1
	v_cvt_i32_f32_e32 v162, v162                               // 00000000556C: 7F4411A2
	v_cvt_i32_f32_e32 v163, v163                               // 000000005570: 7F4611A3
	v_perm_b32 v136, v161, v160, s53                           // 000000005574: D1ED0088 00D741A1
	v_perm_b32 v136, v162, v136, s54                           // 00000000557C: D1ED0088 00DB11A2
	v_perm_b32 v136, v163, v136, s55                           // 000000005584: D1ED0088 00DF11A3
	v_mul_f32_e32 v164, v23, v164                              // 00000000558C: 0B494917
	v_mul_f32_e32 v165, v23, v165                              // 000000005590: 0B4B4B17
	v_mul_f32_e32 v166, v23, v166                              // 000000005594: 0B4D4D17
	v_mul_f32_e32 v167, v23, v167                              // 000000005598: 0B4F4F17
	v_cvt_i32_f32_e32 v164, v164                               // 00000000559C: 7F4811A4
	v_cvt_i32_f32_e32 v165, v165                               // 0000000055A0: 7F4A11A5
	v_cvt_i32_f32_e32 v166, v166                               // 0000000055A4: 7F4C11A6
	v_cvt_i32_f32_e32 v167, v167                               // 0000000055A8: 7F4E11A7
	v_perm_b32 v137, v165, v164, s53                           // 0000000055AC: D1ED0089 00D749A5
	v_perm_b32 v137, v166, v137, s54                           // 0000000055B4: D1ED0089 00DB13A6
	v_perm_b32 v137, v167, v137, s55                           // 0000000055BC: D1ED0089 00DF13A7
	v_mul_f32_e32 v168, v22, v168                              // 0000000055C4: 0B515116
	v_mul_f32_e32 v169, v22, v169                              // 0000000055C8: 0B535316
	v_mul_f32_e32 v170, v22, v170                              // 0000000055CC: 0B555516
	v_mul_f32_e32 v171, v22, v171                              // 0000000055D0: 0B575716
	v_cvt_i32_f32_e32 v168, v168                               // 0000000055D4: 7F5011A8
	v_cvt_i32_f32_e32 v169, v169                               // 0000000055D8: 7F5211A9
	v_cvt_i32_f32_e32 v170, v170                               // 0000000055DC: 7F5411AA
	v_cvt_i32_f32_e32 v171, v171                               // 0000000055E0: 7F5611AB
	v_perm_b32 v138, v169, v168, s53                           // 0000000055E4: D1ED008A 00D751A9
	v_perm_b32 v138, v170, v138, s54                           // 0000000055EC: D1ED008A 00DB15AA
	v_perm_b32 v138, v171, v138, s55                           // 0000000055F4: D1ED008A 00DF15AB
	v_mul_f32_e32 v172, v23, v172                              // 0000000055FC: 0B595917
	v_mul_f32_e32 v173, v23, v173                              // 000000005600: 0B5B5B17
	v_mul_f32_e32 v174, v23, v174                              // 000000005604: 0B5D5D17
	v_mul_f32_e32 v175, v23, v175                              // 000000005608: 0B5F5F17
	v_cvt_i32_f32_e32 v172, v172                               // 00000000560C: 7F5811AC
	v_cvt_i32_f32_e32 v173, v173                               // 000000005610: 7F5A11AD
	v_cvt_i32_f32_e32 v174, v174                               // 000000005614: 7F5C11AE
	v_cvt_i32_f32_e32 v175, v175                               // 000000005618: 7F5E11AF
	v_perm_b32 v139, v173, v172, s53                           // 00000000561C: D1ED008B 00D759AD
	v_perm_b32 v139, v174, v139, s54                           // 000000005624: D1ED008B 00DB17AE
	v_perm_b32 v139, v175, v139, s55                           // 00000000562C: D1ED008B 00DF17AF
	v_mul_f32_e32 v176, v22, v176                              // 000000005634: 0B616116
	v_mul_f32_e32 v177, v22, v177                              // 000000005638: 0B636316
	v_mul_f32_e32 v178, v22, v178                              // 00000000563C: 0B656516
	v_mul_f32_e32 v179, v22, v179                              // 000000005640: 0B676716
	v_cvt_i32_f32_e32 v176, v176                               // 000000005644: 7F6011B0
	v_cvt_i32_f32_e32 v177, v177                               // 000000005648: 7F6211B1
	v_cvt_i32_f32_e32 v178, v178                               // 00000000564C: 7F6411B2
	v_cvt_i32_f32_e32 v179, v179                               // 000000005650: 7F6611B3
	v_perm_b32 v140, v177, v176, s53                           // 000000005654: D1ED008C 00D761B1
	v_perm_b32 v140, v178, v140, s54                           // 00000000565C: D1ED008C 00DB19B2
	v_perm_b32 v140, v179, v140, s55                           // 000000005664: D1ED008C 00DF19B3
	v_mul_f32_e32 v180, v23, v180                              // 00000000566C: 0B696917
	v_mul_f32_e32 v181, v23, v181                              // 000000005670: 0B6B6B17
	v_mul_f32_e32 v182, v23, v182                              // 000000005674: 0B6D6D17
	v_mul_f32_e32 v183, v23, v183                              // 000000005678: 0B6F6F17
	v_cvt_i32_f32_e32 v180, v180                               // 00000000567C: 7F6811B4
	v_cvt_i32_f32_e32 v181, v181                               // 000000005680: 7F6A11B5
	v_cvt_i32_f32_e32 v182, v182                               // 000000005684: 7F6C11B6
	v_cvt_i32_f32_e32 v183, v183                               // 000000005688: 7F6E11B7
	v_perm_b32 v141, v181, v180, s53                           // 00000000568C: D1ED008D 00D769B5
	v_perm_b32 v141, v182, v141, s54                           // 000000005694: D1ED008D 00DB1BB6
	v_perm_b32 v141, v183, v141, s55                           // 00000000569C: D1ED008D 00DF1BB7
	v_rcp_f32_e32 v24, v22                                     // 0000000056A4: 7E304516
	v_rcp_f32_e32 v25, v23                                     // 0000000056A8: 7E324517
	v_lshrrev_b32_e32 v50, 5, v0                               // 0000000056AC: 20640085
	v_lshlrev_b32_e32 v51, 5, v50                              // 0000000056B0: 24666485
	v_and_b32_e32 v50, 31, v0                                  // 0000000056B4: 2664009F
	v_lshrrev_b32_e32 v52, 4, v50                              // 0000000056B8: 20686484
	v_add_u32_e32 v51, v52, v51                                // 0000000056BC: 68666734
	v_and_b32_e32 v50, 15, v0                                  // 0000000056C0: 2664008F
	v_lshlrev_b32_e32 v50, 1, v50                              // 0000000056C4: 24646481
	v_add_u32_e32 v51, v50, v51                                // 0000000056C8: 68666732
	v_lshlrev_b32_e32 v50, 2, v51                              // 0000000056CC: 24646682
	s_mul_i32 s60, 0x100, s7                                   // 0000000056D0: 923C07FF 00000100
	v_add_u32_e64 v50, v50, s60                                // 0000000056D8: D1340032 00007932
	ds_write_b32 v50, v128 offset:18688                        // 0000000056E0: D81A4900 00008032
	ds_write_b32 v50, v129 offset:25856                        // 0000000056E8: D81A6500 00008132
	ds_write_b32 v50, v130 offset:19712                        // 0000000056F0: D81A4D00 00008232
	ds_write_b32 v50, v131 offset:26880                        // 0000000056F8: D81A6900 00008332
	ds_write_b32 v50, v132 offset:20736                        // 000000005700: D81A5100 00008432
	ds_write_b32 v50, v133 offset:27904                        // 000000005708: D81A6D00 00008532
	ds_write_b32 v50, v134 offset:21760                        // 000000005710: D81A5500 00008632
	ds_write_b32 v50, v135 offset:28928                        // 000000005718: D81A7100 00008732
	ds_write_b32 v50, v136 offset:22784                        // 000000005720: D81A5900 00008832
	ds_write_b32 v50, v137 offset:29952                        // 000000005728: D81A7500 00008932
	ds_write_b32 v50, v138 offset:23808                        // 000000005730: D81A5D00 00008A32
	ds_write_b32 v50, v139 offset:30976                        // 000000005738: D81A7900 00008B32
	ds_write_b32 v50, v140 offset:24832                        // 000000005740: D81A6100 00008C32
	ds_write_b32 v50, v141 offset:32000                        // 000000005748: D81A7D00 00008D32
	s_waitcnt lgkmcnt(0)                                       // 000000005750: BF8CC07F
	s_barrier                                                  // 000000005754: BF8A0000
	v_lshrrev_b32_e32 v50, 4, v0                               // 000000005758: 20640084
	v_lshlrev_b32_e32 v51, 6, v50                              // 00000000575C: 24666486
	v_and_b32_e32 v50, 15, v0                                  // 000000005760: 2664008F
	v_lshlrev_b32_e32 v50, 1, v50                              // 000000005764: 24646481
	v_add_u32_e32 v51, v50, v51                                // 000000005768: 68666732
	v_lshlrev_b32_e32 v50, 2, v51                              // 00000000576C: 24646682
	ds_read_b64 v[128:129], v50 offset:18688                   // 000000005770: D8EC4900 80000032
	ds_read_b64 v[130:131], v50 offset:18816                   // 000000005778: D8EC4980 82000032
	ds_read_b64 v[132:133], v50 offset:19712                   // 000000005780: D8EC4D00 84000032
	ds_read_b64 v[134:135], v50 offset:19840                   // 000000005788: D8EC4D80 86000032
	ds_read_b64 v[136:137], v50 offset:20736                   // 000000005790: D8EC5100 88000032
	ds_read_b64 v[138:139], v50 offset:20864                   // 000000005798: D8EC5180 8A000032
	ds_read_b64 v[140:141], v50 offset:21760                   // 0000000057A0: D8EC5500 8C000032
	ds_read_b64 v[142:143], v50 offset:21888                   // 0000000057A8: D8EC5580 8E000032
	ds_read_b64 v[144:145], v50 offset:22784                   // 0000000057B0: D8EC5900 90000032
	ds_read_b64 v[146:147], v50 offset:22912                   // 0000000057B8: D8EC5980 92000032
	ds_read_b64 v[148:149], v50 offset:23808                   // 0000000057C0: D8EC5D00 94000032
	ds_read_b64 v[150:151], v50 offset:23936                   // 0000000057C8: D8EC5D80 96000032
	ds_read_b64 v[152:153], v50 offset:24832                   // 0000000057D0: D8EC6100 98000032
	ds_read_b64 v[154:155], v50 offset:24960                   // 0000000057D8: D8EC6180 9A000032
	ds_read_b64 v[156:157], v50 offset:25856                   // 0000000057E0: D8EC6500 9C000032
	ds_read_b64 v[158:159], v50 offset:25984                   // 0000000057E8: D8EC6580 9E000032
	ds_read_b64 v[160:161], v50 offset:26880                   // 0000000057F0: D8EC6900 A0000032
	ds_read_b64 v[162:163], v50 offset:27008                   // 0000000057F8: D8EC6980 A2000032
	ds_read_b64 v[164:165], v50 offset:27904                   // 000000005800: D8EC6D00 A4000032
	ds_read_b64 v[166:167], v50 offset:28032                   // 000000005808: D8EC6D80 A6000032
	ds_read_b64 v[168:169], v50 offset:28928                   // 000000005810: D8EC7100 A8000032
	ds_read_b64 v[170:171], v50 offset:29056                   // 000000005818: D8EC7180 AA000032
	ds_read_b64 v[172:173], v50 offset:29952                   // 000000005820: D8EC7500 AC000032
	ds_read_b64 v[174:175], v50 offset:30080                   // 000000005828: D8EC7580 AE000032
	ds_read_b64 v[176:177], v50 offset:30976                   // 000000005830: D8EC7900 B0000032
	ds_read_b64 v[178:179], v50 offset:31104                   // 000000005838: D8EC7980 B2000032
	ds_read_b64 v[180:181], v50 offset:32000                   // 000000005840: D8EC7D00 B4000032
	ds_read_b64 v[182:183], v50 offset:32128                   // 000000005848: D8EC7D80 B6000032
	s_add_u32 s12, s56, s12                                    // 000000005850: 800C0C38
	s_addc_u32 s13, 0, s13                                     // 000000005854: 820D0D80
	s_add_u32 s16, s79, s16                                    // 000000005858: 8010104F
	s_addc_u32 s17, 0, s17                                     // 00000000585C: 82111180
	s_mov_b32 s80, 0                                           // 000000005860: BED00080
	s_waitcnt vmcnt(0) expcnt(0) lgkmcnt(0)                    // 000000005864: BF8C0000

0000000000005868 <label_0A9A>:
	s_waitcnt vmcnt(41)                                        // 000000005868: BF8C8F79
	s_barrier                                                  // 00000000586C: BF8A0000
	v_mfma_i32_16x16x32_i8 v[184:187], a[0:1], v[128:129], 0   // 000000005870: D3D700B8 0A030100
	v_mfma_i32_16x16x32_i8 v[184:187], a[2:3], v[130:131], v[184:187]// 000000005878: D3D700B8 0EE30502
	buffer_load_dwordx4 a[112:115], v41, s[12:15], 0 offen     // 000000005880: E05C1000 80837029
	v_mfma_i32_16x16x32_i8 v[188:191], a[0:1], v[156:157], 0   // 000000005888: D3D700BC 0A033900
	v_mfma_i32_16x16x32_i8 v[188:191], a[2:3], v[158:159], v[188:191]// 000000005890: D3D700BC 0EF33D02
	v_mfma_i32_16x16x32_i8 v[192:195], a[4:5], v[128:129], 0   // 000000005898: D3D700C0 0A030104
	v_mfma_i32_16x16x32_i8 v[192:195], a[6:7], v[130:131], v[192:195]// 0000000058A0: D3D700C0 0F030506
	buffer_load_dwordx4 a[116:119], v42, s[12:15], 0 offen     // 0000000058A8: E05C1000 8083742A
	v_mfma_i32_16x16x32_i8 v[196:199], a[4:5], v[156:157], 0   // 0000000058B0: D3D700C4 0A033904
	v_mfma_i32_16x16x32_i8 v[196:199], a[6:7], v[158:159], v[196:199]// 0000000058B8: D3D700C4 0F133D06
	v_mfma_i32_16x16x32_i8 v[200:203], a[8:9], v[128:129], 0   // 0000000058C0: D3D700C8 0A030108
	v_mfma_i32_16x16x32_i8 v[200:203], a[10:11], v[130:131], v[200:203]// 0000000058C8: D3D700C8 0F23050A
	buffer_load_dwordx4 a[120:123], v43, s[12:15], 0 offen     // 0000000058D0: E05C1000 8083782B
	v_mfma_i32_16x16x32_i8 v[204:207], a[8:9], v[156:157], 0   // 0000000058D8: D3D700CC 0A033908
	v_mfma_i32_16x16x32_i8 v[204:207], a[10:11], v[158:159], v[204:207]// 0000000058E0: D3D700CC 0F333D0A
	v_mfma_i32_16x16x32_i8 v[208:211], a[12:13], v[128:129], 0 // 0000000058E8: D3D700D0 0A03010C
	v_mfma_i32_16x16x32_i8 v[208:211], a[14:15], v[130:131], v[208:211]// 0000000058F0: D3D700D0 0F43050E
	buffer_load_dwordx4 a[124:127], v44, s[12:15], 0 offen     // 0000000058F8: E05C1000 80837C2C
	s_add_u32 s12, s78, s12                                    // 000000005900: 800C0C4E
	s_addc_u32 s13, 0, s13                                     // 000000005904: 820D0D80
	v_mfma_i32_16x16x32_i8 v[212:215], a[12:13], v[156:157], 0 // 000000005908: D3D700D4 0A03390C
	v_mfma_i32_16x16x32_i8 v[212:215], a[14:15], v[158:159], v[212:215]// 000000005910: D3D700D4 0F533D0E
	s_waitcnt vmcnt(41)                                        // 000000005918: BF8C8F79
	v_mfma_i32_16x16x32_i8 v[184:187], a[16:17], v[132:133], v[184:187]// 00000000591C: D3D700B8 0EE30910
	v_mfma_i32_16x16x32_i8 v[184:187], a[18:19], v[134:135], v[184:187]// 000000005924: D3D700B8 0EE30D12
	buffer_load_dwordx4 a[128:131], v41, s[12:15], 0 offen     // 00000000592C: E05C1000 80838029
	v_mfma_i32_16x16x32_i8 v[188:191], a[16:17], v[160:161], v[188:191]// 000000005934: D3D700BC 0EF34110
	v_mfma_i32_16x16x32_i8 v[188:191], a[18:19], v[162:163], v[188:191]// 00000000593C: D3D700BC 0EF34512
	v_mfma_i32_16x16x32_i8 v[192:195], a[20:21], v[132:133], v[192:195]// 000000005944: D3D700C0 0F030914
	v_mfma_i32_16x16x32_i8 v[192:195], a[22:23], v[134:135], v[192:195]// 00000000594C: D3D700C0 0F030D16
	buffer_load_dwordx4 a[132:135], v42, s[12:15], 0 offen     // 000000005954: E05C1000 8083842A
	v_mfma_i32_16x16x32_i8 v[196:199], a[20:21], v[160:161], v[196:199]// 00000000595C: D3D700C4 0F134114
	v_mfma_i32_16x16x32_i8 v[196:199], a[22:23], v[162:163], v[196:199]// 000000005964: D3D700C4 0F134516
	v_mfma_i32_16x16x32_i8 v[200:203], a[24:25], v[132:133], v[200:203]// 00000000596C: D3D700C8 0F230918
	v_mfma_i32_16x16x32_i8 v[200:203], a[26:27], v[134:135], v[200:203]// 000000005974: D3D700C8 0F230D1A
	buffer_load_dwordx4 a[136:139], v43, s[12:15], 0 offen     // 00000000597C: E05C1000 8083882B
	v_mfma_i32_16x16x32_i8 v[204:207], a[24:25], v[160:161], v[204:207]// 000000005984: D3D700CC 0F334118
	v_mfma_i32_16x16x32_i8 v[204:207], a[26:27], v[162:163], v[204:207]// 00000000598C: D3D700CC 0F33451A
	v_mfma_i32_16x16x32_i8 v[208:211], a[28:29], v[132:133], v[208:211]// 000000005994: D3D700D0 0F43091C
	v_mfma_i32_16x16x32_i8 v[208:211], a[30:31], v[134:135], v[208:211]// 00000000599C: D3D700D0 0F430D1E
	buffer_load_dwordx4 a[140:143], v44, s[12:15], 0 offen     // 0000000059A4: E05C1000 80838C2C
	s_add_u32 s12, s78, s12                                    // 0000000059AC: 800C0C4E
	s_addc_u32 s13, 0, s13                                     // 0000000059B0: 820D0D80
	v_mfma_i32_16x16x32_i8 v[212:215], a[28:29], v[160:161], v[212:215]// 0000000059B4: D3D700D4 0F53411C
	v_mfma_i32_16x16x32_i8 v[212:215], a[30:31], v[162:163], v[212:215]// 0000000059BC: D3D700D4 0F53451E
	s_waitcnt vmcnt(41)                                        // 0000000059C4: BF8C8F79
	v_mfma_i32_16x16x32_i8 v[184:187], a[32:33], v[136:137], v[184:187]// 0000000059C8: D3D700B8 0EE31120
	v_mfma_i32_16x16x32_i8 v[184:187], a[34:35], v[138:139], v[184:187]// 0000000059D0: D3D700B8 0EE31522
	buffer_load_dwordx4 a[144:147], v41, s[12:15], 0 offen     // 0000000059D8: E05C1000 80839029
	v_mfma_i32_16x16x32_i8 v[188:191], a[32:33], v[164:165], v[188:191]// 0000000059E0: D3D700BC 0EF34920
	v_mfma_i32_16x16x32_i8 v[188:191], a[34:35], v[166:167], v[188:191]// 0000000059E8: D3D700BC 0EF34D22
	v_mfma_i32_16x16x32_i8 v[192:195], a[36:37], v[136:137], v[192:195]// 0000000059F0: D3D700C0 0F031124
	v_mfma_i32_16x16x32_i8 v[192:195], a[38:39], v[138:139], v[192:195]// 0000000059F8: D3D700C0 0F031526
	buffer_load_dwordx4 a[148:151], v42, s[12:15], 0 offen     // 000000005A00: E05C1000 8083942A
	v_mfma_i32_16x16x32_i8 v[196:199], a[36:37], v[164:165], v[196:199]// 000000005A08: D3D700C4 0F134924
	v_mfma_i32_16x16x32_i8 v[196:199], a[38:39], v[166:167], v[196:199]// 000000005A10: D3D700C4 0F134D26
	v_mfma_i32_16x16x32_i8 v[200:203], a[40:41], v[136:137], v[200:203]// 000000005A18: D3D700C8 0F231128
	v_mfma_i32_16x16x32_i8 v[200:203], a[42:43], v[138:139], v[200:203]// 000000005A20: D3D700C8 0F23152A
	buffer_load_dwordx4 a[152:155], v43, s[12:15], 0 offen     // 000000005A28: E05C1000 8083982B
	v_mfma_i32_16x16x32_i8 v[204:207], a[40:41], v[164:165], v[204:207]// 000000005A30: D3D700CC 0F334928
	v_mfma_i32_16x16x32_i8 v[204:207], a[42:43], v[166:167], v[204:207]// 000000005A38: D3D700CC 0F334D2A
	v_mfma_i32_16x16x32_i8 v[208:211], a[44:45], v[136:137], v[208:211]// 000000005A40: D3D700D0 0F43112C
	v_mfma_i32_16x16x32_i8 v[208:211], a[46:47], v[138:139], v[208:211]// 000000005A48: D3D700D0 0F43152E
	buffer_load_dwordx4 a[156:159], v44, s[12:15], 0 offen     // 000000005A50: E05C1000 80839C2C
	s_add_u32 s12, s78, s12                                    // 000000005A58: 800C0C4E
	s_addc_u32 s13, 0, s13                                     // 000000005A5C: 820D0D80
	v_mfma_i32_16x16x32_i8 v[212:215], a[44:45], v[164:165], v[212:215]// 000000005A60: D3D700D4 0F53492C
	v_mfma_i32_16x16x32_i8 v[212:215], a[46:47], v[166:167], v[212:215]// 000000005A68: D3D700D4 0F534D2E
	s_waitcnt vmcnt(41)                                        // 000000005A70: BF8C8F79
	v_mfma_i32_16x16x32_i8 v[184:187], a[48:49], v[140:141], v[184:187]// 000000005A74: D3D700B8 0EE31930
	v_mfma_i32_16x16x32_i8 v[184:187], a[50:51], v[142:143], v[184:187]// 000000005A7C: D3D700B8 0EE31D32
	buffer_load_dwordx4 a[160:163], v41, s[12:15], 0 offen     // 000000005A84: E05C1000 8083A029
	v_mfma_i32_16x16x32_i8 v[188:191], a[48:49], v[168:169], v[188:191]// 000000005A8C: D3D700BC 0EF35130
	v_mfma_i32_16x16x32_i8 v[188:191], a[50:51], v[170:171], v[188:191]// 000000005A94: D3D700BC 0EF35532
	v_mfma_i32_16x16x32_i8 v[192:195], a[52:53], v[140:141], v[192:195]// 000000005A9C: D3D700C0 0F031934
	v_mfma_i32_16x16x32_i8 v[192:195], a[54:55], v[142:143], v[192:195]// 000000005AA4: D3D700C0 0F031D36
	buffer_load_dwordx4 a[164:167], v42, s[12:15], 0 offen     // 000000005AAC: E05C1000 8083A42A
	v_mfma_i32_16x16x32_i8 v[196:199], a[52:53], v[168:169], v[196:199]// 000000005AB4: D3D700C4 0F135134
	v_mfma_i32_16x16x32_i8 v[196:199], a[54:55], v[170:171], v[196:199]// 000000005ABC: D3D700C4 0F135536
	v_mfma_i32_16x16x32_i8 v[200:203], a[56:57], v[140:141], v[200:203]// 000000005AC4: D3D700C8 0F231938
	v_mfma_i32_16x16x32_i8 v[200:203], a[58:59], v[142:143], v[200:203]// 000000005ACC: D3D700C8 0F231D3A
	buffer_load_dwordx4 a[168:171], v43, s[12:15], 0 offen     // 000000005AD4: E05C1000 8083A82B
	v_mfma_i32_16x16x32_i8 v[204:207], a[56:57], v[168:169], v[204:207]// 000000005ADC: D3D700CC 0F335138
	v_mfma_i32_16x16x32_i8 v[204:207], a[58:59], v[170:171], v[204:207]// 000000005AE4: D3D700CC 0F33553A
	v_mfma_i32_16x16x32_i8 v[208:211], a[60:61], v[140:141], v[208:211]// 000000005AEC: D3D700D0 0F43193C
	v_mfma_i32_16x16x32_i8 v[208:211], a[62:63], v[142:143], v[208:211]// 000000005AF4: D3D700D0 0F431D3E
	buffer_load_dwordx4 a[172:175], v44, s[12:15], 0 offen     // 000000005AFC: E05C1000 8083AC2C
	s_add_u32 s12, s78, s12                                    // 000000005B04: 800C0C4E
	s_addc_u32 s13, 0, s13                                     // 000000005B08: 820D0D80
	v_mfma_i32_16x16x32_i8 v[212:215], a[60:61], v[168:169], v[212:215]// 000000005B0C: D3D700D4 0F53513C
	v_mfma_i32_16x16x32_i8 v[212:215], a[62:63], v[170:171], v[212:215]// 000000005B14: D3D700D4 0F53553E
	s_waitcnt vmcnt(41)                                        // 000000005B1C: BF8C8F79
	v_mfma_i32_16x16x32_i8 v[184:187], a[64:65], v[144:145], v[184:187]// 000000005B20: D3D700B8 0EE32140
	v_mfma_i32_16x16x32_i8 v[184:187], a[66:67], v[146:147], v[184:187]// 000000005B28: D3D700B8 0EE32542
	buffer_load_dwordx4 a[176:179], v41, s[12:15], 0 offen     // 000000005B30: E05C1000 8083B029
	v_mfma_i32_16x16x32_i8 v[188:191], a[64:65], v[172:173], v[188:191]// 000000005B38: D3D700BC 0EF35940
	v_mfma_i32_16x16x32_i8 v[188:191], a[66:67], v[174:175], v[188:191]// 000000005B40: D3D700BC 0EF35D42
	v_mfma_i32_16x16x32_i8 v[192:195], a[68:69], v[144:145], v[192:195]// 000000005B48: D3D700C0 0F032144
	v_mfma_i32_16x16x32_i8 v[192:195], a[70:71], v[146:147], v[192:195]// 000000005B50: D3D700C0 0F032546
	buffer_load_dwordx4 a[180:183], v42, s[12:15], 0 offen     // 000000005B58: E05C1000 8083B42A
	v_mfma_i32_16x16x32_i8 v[196:199], a[68:69], v[172:173], v[196:199]// 000000005B60: D3D700C4 0F135944
	v_mfma_i32_16x16x32_i8 v[196:199], a[70:71], v[174:175], v[196:199]// 000000005B68: D3D700C4 0F135D46
	v_mfma_i32_16x16x32_i8 v[200:203], a[72:73], v[144:145], v[200:203]// 000000005B70: D3D700C8 0F232148
	v_mfma_i32_16x16x32_i8 v[200:203], a[74:75], v[146:147], v[200:203]// 000000005B78: D3D700C8 0F23254A
	buffer_load_dwordx4 a[184:187], v43, s[12:15], 0 offen     // 000000005B80: E05C1000 8083B82B
	v_mfma_i32_16x16x32_i8 v[204:207], a[72:73], v[172:173], v[204:207]// 000000005B88: D3D700CC 0F335948
	v_mfma_i32_16x16x32_i8 v[204:207], a[74:75], v[174:175], v[204:207]// 000000005B90: D3D700CC 0F335D4A
	v_mfma_i32_16x16x32_i8 v[208:211], a[76:77], v[144:145], v[208:211]// 000000005B98: D3D700D0 0F43214C
	v_mfma_i32_16x16x32_i8 v[208:211], a[78:79], v[146:147], v[208:211]// 000000005BA0: D3D700D0 0F43254E
	buffer_load_dwordx4 a[188:191], v44, s[12:15], 0 offen     // 000000005BA8: E05C1000 8083BC2C
	s_add_u32 s12, s78, s12                                    // 000000005BB0: 800C0C4E
	s_addc_u32 s13, 0, s13                                     // 000000005BB4: 820D0D80
	v_mfma_i32_16x16x32_i8 v[212:215], a[76:77], v[172:173], v[212:215]// 000000005BB8: D3D700D4 0F53594C
	v_mfma_i32_16x16x32_i8 v[212:215], a[78:79], v[174:175], v[212:215]// 000000005BC0: D3D700D4 0F535D4E
	s_waitcnt vmcnt(41)                                        // 000000005BC8: BF8C8F79
	v_mfma_i32_16x16x32_i8 v[184:187], a[80:81], v[148:149], v[184:187]// 000000005BCC: D3D700B8 0EE32950
	v_mfma_i32_16x16x32_i8 v[184:187], a[82:83], v[150:151], v[184:187]// 000000005BD4: D3D700B8 0EE32D52
	buffer_load_dwordx4 a[192:195], v41, s[12:15], 0 offen     // 000000005BDC: E05C1000 8083C029
	v_mfma_i32_16x16x32_i8 v[188:191], a[80:81], v[176:177], v[188:191]// 000000005BE4: D3D700BC 0EF36150
	v_mfma_i32_16x16x32_i8 v[188:191], a[82:83], v[178:179], v[188:191]// 000000005BEC: D3D700BC 0EF36552
	v_mfma_i32_16x16x32_i8 v[192:195], a[84:85], v[148:149], v[192:195]// 000000005BF4: D3D700C0 0F032954
	v_mfma_i32_16x16x32_i8 v[192:195], a[86:87], v[150:151], v[192:195]// 000000005BFC: D3D700C0 0F032D56
	buffer_load_dwordx4 a[196:199], v42, s[12:15], 0 offen     // 000000005C04: E05C1000 8083C42A
	v_mfma_i32_16x16x32_i8 v[196:199], a[84:85], v[176:177], v[196:199]// 000000005C0C: D3D700C4 0F136154
	v_mfma_i32_16x16x32_i8 v[196:199], a[86:87], v[178:179], v[196:199]// 000000005C14: D3D700C4 0F136556
	v_mfma_i32_16x16x32_i8 v[200:203], a[88:89], v[148:149], v[200:203]// 000000005C1C: D3D700C8 0F232958
	v_mfma_i32_16x16x32_i8 v[200:203], a[90:91], v[150:151], v[200:203]// 000000005C24: D3D700C8 0F232D5A
	buffer_load_dwordx4 a[200:203], v43, s[12:15], 0 offen     // 000000005C2C: E05C1000 8083C82B
	v_mfma_i32_16x16x32_i8 v[204:207], a[88:89], v[176:177], v[204:207]// 000000005C34: D3D700CC 0F336158
	v_mfma_i32_16x16x32_i8 v[204:207], a[90:91], v[178:179], v[204:207]// 000000005C3C: D3D700CC 0F33655A
	v_mfma_i32_16x16x32_i8 v[208:211], a[92:93], v[148:149], v[208:211]// 000000005C44: D3D700D0 0F43295C
	v_mfma_i32_16x16x32_i8 v[208:211], a[94:95], v[150:151], v[208:211]// 000000005C4C: D3D700D0 0F432D5E
	buffer_load_dwordx4 a[204:207], v44, s[12:15], 0 offen     // 000000005C54: E05C1000 8083CC2C
	s_add_u32 s12, s78, s12                                    // 000000005C5C: 800C0C4E
	s_addc_u32 s13, 0, s13                                     // 000000005C60: 820D0D80
	v_mfma_i32_16x16x32_i8 v[212:215], a[92:93], v[176:177], v[212:215]// 000000005C64: D3D700D4 0F53615C
	v_mfma_i32_16x16x32_i8 v[212:215], a[94:95], v[178:179], v[212:215]// 000000005C6C: D3D700D4 0F53655E
	s_waitcnt vmcnt(40)                                        // 000000005C74: BF8C8F78
	v_mfma_i32_16x16x32_i8 v[184:187], a[96:97], v[152:153], v[184:187]// 000000005C78: D3D700B8 0EE33160
	v_mfma_i32_16x16x32_i8 v[184:187], a[98:99], v[154:155], v[184:187]// 000000005C80: D3D700B8 0EE33562
	buffer_load_dwordx4 a[208:211], v41, s[12:15], 0 offen     // 000000005C88: E05C1000 8083D029
	v_mfma_i32_16x16x32_i8 v[188:191], a[96:97], v[180:181], v[188:191]// 000000005C90: D3D700BC 0EF36960
	v_mfma_i32_16x16x32_i8 v[188:191], a[98:99], v[182:183], v[188:191]// 000000005C98: D3D700BC 0EF36D62
	buffer_load_dword v13, v5, s[16:19], 0 offen               // 000000005CA0: E0501000 80040D05
	v_mfma_i32_16x16x32_i8 v[192:195], a[100:101], v[152:153], v[192:195]// 000000005CA8: D3D700C0 0F033164
	v_mfma_i32_16x16x32_i8 v[192:195], a[102:103], v[154:155], v[192:195]// 000000005CB0: D3D700C0 0F033566
	buffer_load_dwordx4 a[212:215], v42, s[12:15], 0 offen     // 000000005CB8: E05C1000 8083D42A
	v_mfma_i32_16x16x32_i8 v[196:199], a[100:101], v[180:181], v[196:199]// 000000005CC0: D3D700C4 0F136964
	v_mfma_i32_16x16x32_i8 v[196:199], a[102:103], v[182:183], v[196:199]// 000000005CC8: D3D700C4 0F136D66
	v_mfma_i32_16x16x32_i8 v[200:203], a[104:105], v[152:153], v[200:203]// 000000005CD0: D3D700C8 0F233168
	v_mfma_i32_16x16x32_i8 v[200:203], a[106:107], v[154:155], v[200:203]// 000000005CD8: D3D700C8 0F23356A
	buffer_load_dwordx4 a[216:219], v43, s[12:15], 0 offen     // 000000005CE0: E05C1000 8083D82B
	v_mfma_i32_16x16x32_i8 v[204:207], a[104:105], v[180:181], v[204:207]// 000000005CE8: D3D700CC 0F336968
	v_mfma_i32_16x16x32_i8 v[204:207], a[106:107], v[182:183], v[204:207]// 000000005CF0: D3D700CC 0F336D6A
	v_mfma_i32_16x16x32_i8 v[208:211], a[108:109], v[152:153], v[208:211]// 000000005CF8: D3D700D0 0F43316C
	v_mfma_i32_16x16x32_i8 v[208:211], a[110:111], v[154:155], v[208:211]// 000000005D00: D3D700D0 0F43356E
	buffer_load_dwordx4 a[220:223], v44, s[12:15], 0 offen     // 000000005D08: E05C1000 8083DC2C
	v_mfma_i32_16x16x32_i8 v[212:215], a[108:109], v[180:181], v[212:215]// 000000005D10: D3D700D4 0F53696C
	v_mfma_i32_16x16x32_i8 v[212:215], a[110:111], v[182:183], v[212:215]// 000000005D18: D3D700D4 0F536D6E
	s_add_u32 s60, 0x200, s80                                  // 000000005D20: 803C50FF 00000200
	s_cmp_lt_u32 s60, s81                                      // 000000005D28: BF0A513C
	s_cselect_b32 s56, s56, 0                                  // 000000005D2C: 85388038
	s_cselect_b32 s78, s78, 0                                  // 000000005D30: 854E804E
	s_cselect_b32 s79, s79, 0                                  // 000000005D34: 854F804F
	s_add_u32 s12, s56, s12                                    // 000000005D38: 800C0C38
	s_addc_u32 s13, 0, s13                                     // 000000005D3C: 820D0D80
	s_add_u32 s16, s79, s16                                    // 000000005D40: 8010104F
	s_addc_u32 s17, 0, s17                                     // 000000005D44: 82111180
	v_cvt_f32_i32_e32 v184, v184                               // 000000005D48: 7F700BB8
	v_cvt_f32_i32_e32 v185, v185                               // 000000005D4C: 7F720BB9
	v_cvt_f32_i32_e32 v186, v186                               // 000000005D50: 7F740BBA
	v_cvt_f32_i32_e32 v187, v187                               // 000000005D54: 7F760BBB
	v_mul_f32_e32 v184, v24, v184                              // 000000005D58: 0B717118
	v_mul_f32_e32 v185, v24, v185                              // 000000005D5C: 0B737318
	v_mul_f32_e32 v186, v24, v186                              // 000000005D60: 0B757518
	v_mul_f32_e32 v187, v24, v187                              // 000000005D64: 0B777718
	v_mul_f32_dpp v184, v12, v184 row_newbcast:0 row_mask:0xf bank_mask:0xf// 000000005D68: 0B7170FA FF01500C
	v_mul_f32_dpp v185, v12, v185 row_newbcast:1 row_mask:0xf bank_mask:0xf// 000000005D70: 0B7372FA FF01510C
	v_mul_f32_dpp v186, v12, v186 row_newbcast:2 row_mask:0xf bank_mask:0xf// 000000005D78: 0B7574FA FF01520C
	v_mul_f32_dpp v187, v12, v187 row_newbcast:3 row_mask:0xf bank_mask:0xf// 000000005D80: 0B7776FA FF01530C
	v_mul_f32_e32 v184, v20, v184                              // 000000005D88: 0B717114
	v_mul_f32_e32 v185, v20, v185                              // 000000005D8C: 0B737314
	v_mul_f32_e32 v186, v20, v186                              // 000000005D90: 0B757514
	v_mul_f32_e32 v187, v20, v187                              // 000000005D94: 0B777714
	v_cvt_f32_i32_e32 v188, v188                               // 000000005D98: 7F780BBC
	v_cvt_f32_i32_e32 v189, v189                               // 000000005D9C: 7F7A0BBD
	v_cvt_f32_i32_e32 v190, v190                               // 000000005DA0: 7F7C0BBE
	v_cvt_f32_i32_e32 v191, v191                               // 000000005DA4: 7F7E0BBF
	v_mul_f32_e32 v188, v25, v188                              // 000000005DA8: 0B797919
	v_mul_f32_e32 v189, v25, v189                              // 000000005DAC: 0B7B7B19
	v_mul_f32_e32 v190, v25, v190                              // 000000005DB0: 0B7D7D19
	v_mul_f32_e32 v191, v25, v191                              // 000000005DB4: 0B7F7F19
	v_mul_f32_dpp v188, v12, v188 row_newbcast:0 row_mask:0xf bank_mask:0xf// 000000005DB8: 0B7978FA FF01500C
	v_mul_f32_dpp v189, v12, v189 row_newbcast:1 row_mask:0xf bank_mask:0xf// 000000005DC0: 0B7B7AFA FF01510C
	v_mul_f32_dpp v190, v12, v190 row_newbcast:2 row_mask:0xf bank_mask:0xf// 000000005DC8: 0B7D7CFA FF01520C
	v_mul_f32_dpp v191, v12, v191 row_newbcast:3 row_mask:0xf bank_mask:0xf// 000000005DD0: 0B7F7EFA FF01530C
	v_mul_f32_e32 v188, v21, v188                              // 000000005DD8: 0B797915
	v_mul_f32_e32 v189, v21, v189                              // 000000005DDC: 0B7B7B15
	v_mul_f32_e32 v190, v21, v190                              // 000000005DE0: 0B7D7D15
	v_mul_f32_e32 v191, v21, v191                              // 000000005DE4: 0B7F7F15
	v_cvt_f32_i32_e32 v192, v192                               // 000000005DE8: 7F800BC0
	v_cvt_f32_i32_e32 v193, v193                               // 000000005DEC: 7F820BC1
	v_cvt_f32_i32_e32 v194, v194                               // 000000005DF0: 7F840BC2
	v_cvt_f32_i32_e32 v195, v195                               // 000000005DF4: 7F860BC3
	v_mul_f32_e32 v192, v24, v192                              // 000000005DF8: 0B818118
	v_mul_f32_e32 v193, v24, v193                              // 000000005DFC: 0B838318
	v_mul_f32_e32 v194, v24, v194                              // 000000005E00: 0B858518
	v_mul_f32_e32 v195, v24, v195                              // 000000005E04: 0B878718
	v_mul_f32_dpp v192, v12, v192 row_newbcast:4 row_mask:0xf bank_mask:0xf// 000000005E08: 0B8180FA FF01540C
	v_mul_f32_dpp v193, v12, v193 row_newbcast:5 row_mask:0xf bank_mask:0xf// 000000005E10: 0B8382FA FF01550C
	v_mul_f32_dpp v194, v12, v194 row_newbcast:6 row_mask:0xf bank_mask:0xf// 000000005E18: 0B8584FA FF01560C
	v_mul_f32_dpp v195, v12, v195 row_newbcast:7 row_mask:0xf bank_mask:0xf// 000000005E20: 0B8786FA FF01570C
	v_mul_f32_e32 v192, v20, v192                              // 000000005E28: 0B818114
	v_mul_f32_e32 v193, v20, v193                              // 000000005E2C: 0B838314
	v_mul_f32_e32 v194, v20, v194                              // 000000005E30: 0B858514
	v_mul_f32_e32 v195, v20, v195                              // 000000005E34: 0B878714
	v_cvt_f32_i32_e32 v196, v196                               // 000000005E38: 7F880BC4
	v_cvt_f32_i32_e32 v197, v197                               // 000000005E3C: 7F8A0BC5
	v_cvt_f32_i32_e32 v198, v198                               // 000000005E40: 7F8C0BC6
	v_cvt_f32_i32_e32 v199, v199                               // 000000005E44: 7F8E0BC7
	v_mul_f32_e32 v196, v25, v196                              // 000000005E48: 0B898919
	v_mul_f32_e32 v197, v25, v197                              // 000000005E4C: 0B8B8B19
	v_mul_f32_e32 v198, v25, v198                              // 000000005E50: 0B8D8D19
	v_mul_f32_e32 v199, v25, v199                              // 000000005E54: 0B8F8F19
	v_mul_f32_dpp v196, v12, v196 row_newbcast:4 row_mask:0xf bank_mask:0xf// 000000005E58: 0B8988FA FF01540C
	v_mul_f32_dpp v197, v12, v197 row_newbcast:5 row_mask:0xf bank_mask:0xf// 000000005E60: 0B8B8AFA FF01550C
	v_mul_f32_dpp v198, v12, v198 row_newbcast:6 row_mask:0xf bank_mask:0xf// 000000005E68: 0B8D8CFA FF01560C
	v_mul_f32_dpp v199, v12, v199 row_newbcast:7 row_mask:0xf bank_mask:0xf// 000000005E70: 0B8F8EFA FF01570C
	v_mul_f32_e32 v196, v21, v196                              // 000000005E78: 0B898915
	v_mul_f32_e32 v197, v21, v197                              // 000000005E7C: 0B8B8B15
	v_mul_f32_e32 v198, v21, v198                              // 000000005E80: 0B8D8D15
	v_mul_f32_e32 v199, v21, v199                              // 000000005E84: 0B8F8F15
	v_cvt_f32_i32_e32 v200, v200                               // 000000005E88: 7F900BC8
	v_cvt_f32_i32_e32 v201, v201                               // 000000005E8C: 7F920BC9
	v_cvt_f32_i32_e32 v202, v202                               // 000000005E90: 7F940BCA
	v_cvt_f32_i32_e32 v203, v203                               // 000000005E94: 7F960BCB
	v_mul_f32_e32 v200, v24, v200                              // 000000005E98: 0B919118
	v_mul_f32_e32 v201, v24, v201                              // 000000005E9C: 0B939318
	v_mul_f32_e32 v202, v24, v202                              // 000000005EA0: 0B959518
	v_mul_f32_e32 v203, v24, v203                              // 000000005EA4: 0B979718
	v_mul_f32_dpp v200, v12, v200 row_newbcast:8 row_mask:0xf bank_mask:0xf// 000000005EA8: 0B9190FA FF01580C
	v_mul_f32_dpp v201, v12, v201 row_newbcast:9 row_mask:0xf bank_mask:0xf// 000000005EB0: 0B9392FA FF01590C
	v_mul_f32_dpp v202, v12, v202 row_newbcast:10 row_mask:0xf bank_mask:0xf// 000000005EB8: 0B9594FA FF015A0C
	v_mul_f32_dpp v203, v12, v203 row_newbcast:11 row_mask:0xf bank_mask:0xf// 000000005EC0: 0B9796FA FF015B0C
	v_mul_f32_e32 v200, v20, v200                              // 000000005EC8: 0B919114
	v_mul_f32_e32 v201, v20, v201                              // 000000005ECC: 0B939314
	v_mul_f32_e32 v202, v20, v202                              // 000000005ED0: 0B959514
	v_mul_f32_e32 v203, v20, v203                              // 000000005ED4: 0B979714
	v_cvt_f32_i32_e32 v204, v204                               // 000000005ED8: 7F980BCC
	v_cvt_f32_i32_e32 v205, v205                               // 000000005EDC: 7F9A0BCD
	v_cvt_f32_i32_e32 v206, v206                               // 000000005EE0: 7F9C0BCE
	v_cvt_f32_i32_e32 v207, v207                               // 000000005EE4: 7F9E0BCF
	v_mul_f32_e32 v204, v25, v204                              // 000000005EE8: 0B999919
	v_mul_f32_e32 v205, v25, v205                              // 000000005EEC: 0B9B9B19
	v_mul_f32_e32 v206, v25, v206                              // 000000005EF0: 0B9D9D19
	v_mul_f32_e32 v207, v25, v207                              // 000000005EF4: 0B9F9F19
	v_mul_f32_dpp v204, v12, v204 row_newbcast:8 row_mask:0xf bank_mask:0xf// 000000005EF8: 0B9998FA FF01580C
	v_mul_f32_dpp v205, v12, v205 row_newbcast:9 row_mask:0xf bank_mask:0xf// 000000005F00: 0B9B9AFA FF01590C
	v_mul_f32_dpp v206, v12, v206 row_newbcast:10 row_mask:0xf bank_mask:0xf// 000000005F08: 0B9D9CFA FF015A0C
	v_mul_f32_dpp v207, v12, v207 row_newbcast:11 row_mask:0xf bank_mask:0xf// 000000005F10: 0B9F9EFA FF015B0C
	v_mul_f32_e32 v204, v21, v204                              // 000000005F18: 0B999915
	v_mul_f32_e32 v205, v21, v205                              // 000000005F1C: 0B9B9B15
	v_mul_f32_e32 v206, v21, v206                              // 000000005F20: 0B9D9D15
	v_mul_f32_e32 v207, v21, v207                              // 000000005F24: 0B9F9F15
	v_cvt_f32_i32_e32 v208, v208                               // 000000005F28: 7FA00BD0
	v_cvt_f32_i32_e32 v209, v209                               // 000000005F2C: 7FA20BD1
	v_cvt_f32_i32_e32 v210, v210                               // 000000005F30: 7FA40BD2
	v_cvt_f32_i32_e32 v211, v211                               // 000000005F34: 7FA60BD3
	v_mul_f32_e32 v208, v24, v208                              // 000000005F38: 0BA1A118
	v_mul_f32_e32 v209, v24, v209                              // 000000005F3C: 0BA3A318
	v_mul_f32_e32 v210, v24, v210                              // 000000005F40: 0BA5A518
	v_mul_f32_e32 v211, v24, v211                              // 000000005F44: 0BA7A718
	v_mul_f32_dpp v208, v12, v208 row_newbcast:12 row_mask:0xf bank_mask:0xf// 000000005F48: 0BA1A0FA FF015C0C
	v_mul_f32_dpp v209, v12, v209 row_newbcast:13 row_mask:0xf bank_mask:0xf// 000000005F50: 0BA3A2FA FF015D0C
	v_mul_f32_dpp v210, v12, v210 row_newbcast:14 row_mask:0xf bank_mask:0xf// 000000005F58: 0BA5A4FA FF015E0C
	v_mul_f32_dpp v211, v12, v211 row_newbcast:15 row_mask:0xf bank_mask:0xf// 000000005F60: 0BA7A6FA FF015F0C
	v_mul_f32_e32 v208, v20, v208                              // 000000005F68: 0BA1A114
	v_mul_f32_e32 v209, v20, v209                              // 000000005F6C: 0BA3A314
	v_mul_f32_e32 v210, v20, v210                              // 000000005F70: 0BA5A514
	v_mul_f32_e32 v211, v20, v211                              // 000000005F74: 0BA7A714
	v_cvt_f32_i32_e32 v212, v212                               // 000000005F78: 7FA80BD4
	v_cvt_f32_i32_e32 v213, v213                               // 000000005F7C: 7FAA0BD5
	v_cvt_f32_i32_e32 v214, v214                               // 000000005F80: 7FAC0BD6
	v_cvt_f32_i32_e32 v215, v215                               // 000000005F84: 7FAE0BD7
	v_mul_f32_e32 v212, v25, v212                              // 000000005F88: 0BA9A919
	v_mul_f32_e32 v213, v25, v213                              // 000000005F8C: 0BABAB19
	v_mul_f32_e32 v214, v25, v214                              // 000000005F90: 0BADAD19
	v_mul_f32_e32 v215, v25, v215                              // 000000005F94: 0BAFAF19
	v_mul_f32_dpp v212, v12, v212 row_newbcast:12 row_mask:0xf bank_mask:0xf// 000000005F98: 0BA9A8FA FF015C0C
	v_mul_f32_dpp v213, v12, v213 row_newbcast:13 row_mask:0xf bank_mask:0xf// 000000005FA0: 0BABAAFA FF015D0C
	v_mul_f32_dpp v214, v12, v214 row_newbcast:14 row_mask:0xf bank_mask:0xf// 000000005FA8: 0BADACFA FF015E0C
	v_mul_f32_dpp v215, v12, v215 row_newbcast:15 row_mask:0xf bank_mask:0xf// 000000005FB0: 0BAFAEFA FF015F0C
	v_mul_f32_e32 v212, v21, v212                              // 000000005FB8: 0BA9A915
	v_mul_f32_e32 v213, v21, v213                              // 000000005FBC: 0BABAB15
	v_mul_f32_e32 v214, v21, v214                              // 000000005FC0: 0BADAD15
	v_mul_f32_e32 v215, v21, v215                              // 000000005FC4: 0BAFAF15
	v_cvt_pkrtz_f16_f32 v184, v184, v185                       // 000000005FC8: D29600B8 000373B8
	v_cvt_pkrtz_f16_f32 v185, v186, v187                       // 000000005FD0: D29600B9 000377BA
	v_cvt_pkrtz_f16_f32 v186, v188, v189                       // 000000005FD8: D29600BA 00037BBC
	v_cvt_pkrtz_f16_f32 v187, v190, v191                       // 000000005FE0: D29600BB 00037FBE
	v_cvt_pkrtz_f16_f32 v188, v192, v193                       // 000000005FE8: D29600BC 000383C0
	v_cvt_pkrtz_f16_f32 v189, v194, v195                       // 000000005FF0: D29600BD 000387C2
	v_cvt_pkrtz_f16_f32 v190, v196, v197                       // 000000005FF8: D29600BE 00038BC4
	v_cvt_pkrtz_f16_f32 v191, v198, v199                       // 000000006000: D29600BF 00038FC6
	v_cvt_pkrtz_f16_f32 v192, v200, v201                       // 000000006008: D29600C0 000393C8
	v_cvt_pkrtz_f16_f32 v193, v202, v203                       // 000000006010: D29600C1 000397CA
	v_cvt_pkrtz_f16_f32 v194, v204, v205                       // 000000006018: D29600C2 00039BCC
	v_cvt_pkrtz_f16_f32 v195, v206, v207                       // 000000006020: D29600C3 00039FCE
	v_cvt_pkrtz_f16_f32 v196, v208, v209                       // 000000006028: D29600C4 0003A3D0
	v_cvt_pkrtz_f16_f32 v197, v210, v211                       // 000000006030: D29600C5 0003A7D2
	v_cvt_pkrtz_f16_f32 v198, v212, v213                       // 000000006038: D29600C6 0003ABD4
	v_cvt_pkrtz_f16_f32 v199, v214, v215                       // 000000006040: D29600C7 0003AFD6
	ds_write_b64 v3, v[184:185] offset:33024                   // 000000006048: D89A8100 0000B803
	ds_write_b64 v3, v[186:187] offset:41728                   // 000000006050: D89AA300 0000BA03
	ds_write_b64 v3, v[188:189] offset:35200                   // 000000006058: D89A8980 0000BC03
	ds_write_b64 v3, v[190:191] offset:43904                   // 000000006060: D89AAB80 0000BE03
	ds_write_b64 v3, v[192:193] offset:37376                   // 000000006068: D89A9200 0000C003
	ds_write_b64 v3, v[194:195] offset:46080                   // 000000006070: D89AB400 0000C203
	ds_write_b64 v3, v[196:197] offset:39552                   // 000000006078: D89A9A80 0000C403
	ds_write_b64 v3, v[198:199] offset:48256                   // 000000006080: D89ABC80 0000C603
	s_waitcnt lgkmcnt(0)                                       // 000000006088: BF8CC07F
	s_barrier                                                  // 00000000608C: BF8A0000
	ds_read_b32 v64, v4 offset:33024                           // 000000006090: D86C8100 40000004
	ds_read_b32 v65, v4 offset:37376                           // 000000006098: D86C9200 41000004
	ds_read_b32 v66, v4 offset:33056                           // 0000000060A0: D86C8120 42000004
	ds_read_b32 v67, v4 offset:37408                           // 0000000060A8: D86C9220 43000004
	ds_read_b32 v68, v4 offset:33088                           // 0000000060B0: D86C8140 44000004
	ds_read_b32 v69, v4 offset:37440                           // 0000000060B8: D86C9240 45000004
	ds_read_b32 v70, v4 offset:33120                           // 0000000060C0: D86C8160 46000004
	ds_read_b32 v71, v4 offset:37472                           // 0000000060C8: D86C9260 47000004
	ds_read_b32 v72, v4 offset:41728                           // 0000000060D0: D86CA300 48000004
	ds_read_b32 v73, v4 offset:46080                           // 0000000060D8: D86CB400 49000004
	ds_read_b32 v74, v4 offset:41760                           // 0000000060E0: D86CA320 4A000004
	ds_read_b32 v75, v4 offset:46112                           // 0000000060E8: D86CB420 4B000004
	ds_read_b32 v76, v4 offset:41792                           // 0000000060F0: D86CA340 4C000004
	ds_read_b32 v77, v4 offset:46144                           // 0000000060F8: D86CB440 4D000004
	ds_read_b32 v78, v4 offset:41824                           // 000000006100: D86CA360 4E000004
	ds_read_b32 v79, v4 offset:46176                           // 000000006108: D86CB460 4F000004
	s_waitcnt lgkmcnt(0)                                       // 000000006110: BF8CC07F
	s_mov_b64 exec, s[20:21]                                   // 000000006114: BEFE0114
	global_atomic_pk_add_f16 v80, v64, s[8:9]                  // 000000006118: DD388000 00084050
	s_mov_b64 exec, s[36:37]                                   // 000000006120: BEFE0124
	s_mov_b64 exec, s[20:21]                                   // 000000006124: BEFE0114
	global_atomic_pk_add_f16 v80, v65, s[8:9] offset:256       // 000000006128: DD388100 00084150
	s_mov_b64 exec, s[36:37]                                   // 000000006130: BEFE0124
	s_mov_b64 exec, s[22:23]                                   // 000000006134: BEFE0116
	global_atomic_pk_add_f16 v82, v66, s[8:9]                  // 000000006138: DD388000 00084252
	s_mov_b64 exec, s[36:37]                                   // 000000006140: BEFE0124
	s_mov_b64 exec, s[22:23]                                   // 000000006144: BEFE0116
	global_atomic_pk_add_f16 v82, v67, s[8:9] offset:256       // 000000006148: DD388100 00084352
	s_mov_b64 exec, s[36:37]                                   // 000000006150: BEFE0124
	s_mov_b64 exec, s[24:25]                                   // 000000006154: BEFE0118
	global_atomic_pk_add_f16 v84, v68, s[8:9]                  // 000000006158: DD388000 00084454
	s_mov_b64 exec, s[36:37]                                   // 000000006160: BEFE0124
	s_mov_b64 exec, s[24:25]                                   // 000000006164: BEFE0118
	global_atomic_pk_add_f16 v84, v69, s[8:9] offset:256       // 000000006168: DD388100 00084554
	s_mov_b64 exec, s[36:37]                                   // 000000006170: BEFE0124
	s_mov_b64 exec, s[26:27]                                   // 000000006174: BEFE011A
	global_atomic_pk_add_f16 v86, v70, s[8:9]                  // 000000006178: DD388000 00084656
	s_mov_b64 exec, s[36:37]                                   // 000000006180: BEFE0124
	s_mov_b64 exec, s[26:27]                                   // 000000006184: BEFE011A
	global_atomic_pk_add_f16 v86, v71, s[8:9] offset:256       // 000000006188: DD388100 00084756
	s_mov_b64 exec, s[36:37]                                   // 000000006190: BEFE0124
	s_mov_b64 exec, s[28:29]                                   // 000000006194: BEFE011C
	global_atomic_pk_add_f16 v88, v72, s[8:9]                  // 000000006198: DD388000 00084858
	s_mov_b64 exec, s[36:37]                                   // 0000000061A0: BEFE0124
	s_mov_b64 exec, s[28:29]                                   // 0000000061A4: BEFE011C
	global_atomic_pk_add_f16 v88, v73, s[8:9] offset:256       // 0000000061A8: DD388100 00084958
	s_mov_b64 exec, s[36:37]                                   // 0000000061B0: BEFE0124
	s_mov_b64 exec, s[30:31]                                   // 0000000061B4: BEFE011E
	global_atomic_pk_add_f16 v90, v74, s[8:9]                  // 0000000061B8: DD388000 00084A5A
	s_mov_b64 exec, s[36:37]                                   // 0000000061C0: BEFE0124
	s_mov_b64 exec, s[30:31]                                   // 0000000061C4: BEFE011E
	global_atomic_pk_add_f16 v90, v75, s[8:9] offset:256       // 0000000061C8: DD388100 00084B5A
	s_mov_b64 exec, s[36:37]                                   // 0000000061D0: BEFE0124
	s_mov_b64 exec, s[32:33]                                   // 0000000061D4: BEFE0120
	global_atomic_pk_add_f16 v92, v76, s[8:9]                  // 0000000061D8: DD388000 00084C5C
	s_mov_b64 exec, s[36:37]                                   // 0000000061E0: BEFE0124
	s_mov_b64 exec, s[32:33]                                   // 0000000061E4: BEFE0120
	global_atomic_pk_add_f16 v92, v77, s[8:9] offset:256       // 0000000061E8: DD388100 00084D5C
	s_mov_b64 exec, s[36:37]                                   // 0000000061F0: BEFE0124
	s_mov_b64 exec, s[34:35]                                   // 0000000061F4: BEFE0122
	global_atomic_pk_add_f16 v94, v78, s[8:9]                  // 0000000061F8: DD388000 00084E5E
	s_mov_b64 exec, s[36:37]                                   // 000000006200: BEFE0124
	s_mov_b64 exec, s[34:35]                                   // 000000006204: BEFE0122
	global_atomic_pk_add_f16 v94, v79, s[8:9] offset:256       // 000000006208: DD388100 00084F5E
	s_mov_b64 exec, s[36:37]                                   // 000000006210: BEFE0124
	s_add_u32 s8, s59, s8                                      // 000000006214: 8008083B
	s_addc_u32 s9, 0, s9                                       // 000000006218: 82090980
	s_addk_i32 s80, 0x100                                      // 00000000621C: B7500100
	s_cmp_lt_i32 s80, s81                                      // 000000006220: BF045150
	s_cbranch_scc0 label_0F7B                                  // 000000006224: BF840271
	s_waitcnt vmcnt(41)                                        // 000000006228: BF8C8F79
	s_barrier                                                  // 00000000622C: BF8A0000
	v_mfma_i32_16x16x32_i8 v[216:219], a[112:113], v[128:129], 0// 000000006230: D3D700D8 0A030170
	v_mfma_i32_16x16x32_i8 v[216:219], a[114:115], v[130:131], v[216:219]// 000000006238: D3D700D8 0F630572
	buffer_load_dwordx4 a[0:3], v41, s[12:15], 0 offen         // 000000006240: E05C1000 80830029
	v_mfma_i32_16x16x32_i8 v[220:223], a[112:113], v[156:157], 0// 000000006248: D3D700DC 0A033970
	v_mfma_i32_16x16x32_i8 v[220:223], a[114:115], v[158:159], v[220:223]// 000000006250: D3D700DC 0F733D72
	v_mfma_i32_16x16x32_i8 v[224:227], a[116:117], v[128:129], 0// 000000006258: D3D700E0 0A030174
	v_mfma_i32_16x16x32_i8 v[224:227], a[118:119], v[130:131], v[224:227]// 000000006260: D3D700E0 0F830576
	buffer_load_dwordx4 a[4:7], v42, s[12:15], 0 offen         // 000000006268: E05C1000 8083042A
	v_mfma_i32_16x16x32_i8 v[228:231], a[116:117], v[156:157], 0// 000000006270: D3D700E4 0A033974
	v_mfma_i32_16x16x32_i8 v[228:231], a[118:119], v[158:159], v[228:231]// 000000006278: D3D700E4 0F933D76
	v_mfma_i32_16x16x32_i8 v[232:235], a[120:121], v[128:129], 0// 000000006280: D3D700E8 0A030178
	v_mfma_i32_16x16x32_i8 v[232:235], a[122:123], v[130:131], v[232:235]// 000000006288: D3D700E8 0FA3057A
	buffer_load_dwordx4 a[8:11], v43, s[12:15], 0 offen        // 000000006290: E05C1000 8083082B
	v_mfma_i32_16x16x32_i8 v[236:239], a[120:121], v[156:157], 0// 000000006298: D3D700EC 0A033978
	v_mfma_i32_16x16x32_i8 v[236:239], a[122:123], v[158:159], v[236:239]// 0000000062A0: D3D700EC 0FB33D7A
	v_mfma_i32_16x16x32_i8 v[240:243], a[124:125], v[128:129], 0// 0000000062A8: D3D700F0 0A03017C
	v_mfma_i32_16x16x32_i8 v[240:243], a[126:127], v[130:131], v[240:243]// 0000000062B0: D3D700F0 0FC3057E
	buffer_load_dwordx4 a[12:15], v44, s[12:15], 0 offen       // 0000000062B8: E05C1000 80830C2C
	s_add_u32 s12, s78, s12                                    // 0000000062C0: 800C0C4E
	s_addc_u32 s13, 0, s13                                     // 0000000062C4: 820D0D80
	v_mfma_i32_16x16x32_i8 v[244:247], a[124:125], v[156:157], 0// 0000000062C8: D3D700F4 0A03397C
	v_mfma_i32_16x16x32_i8 v[244:247], a[126:127], v[158:159], v[244:247]// 0000000062D0: D3D700F4 0FD33D7E
	s_waitcnt vmcnt(41)                                        // 0000000062D8: BF8C8F79
	v_mfma_i32_16x16x32_i8 v[216:219], a[128:129], v[132:133], v[216:219]// 0000000062DC: D3D700D8 0F630980
	v_mfma_i32_16x16x32_i8 v[216:219], a[130:131], v[134:135], v[216:219]// 0000000062E4: D3D700D8 0F630D82
	buffer_load_dwordx4 a[16:19], v41, s[12:15], 0 offen       // 0000000062EC: E05C1000 80831029
	v_mfma_i32_16x16x32_i8 v[220:223], a[128:129], v[160:161], v[220:223]// 0000000062F4: D3D700DC 0F734180
	v_mfma_i32_16x16x32_i8 v[220:223], a[130:131], v[162:163], v[220:223]// 0000000062FC: D3D700DC 0F734582
	v_mfma_i32_16x16x32_i8 v[224:227], a[132:133], v[132:133], v[224:227]// 000000006304: D3D700E0 0F830984
	v_mfma_i32_16x16x32_i8 v[224:227], a[134:135], v[134:135], v[224:227]// 00000000630C: D3D700E0 0F830D86
	buffer_load_dwordx4 a[20:23], v42, s[12:15], 0 offen       // 000000006314: E05C1000 8083142A
	v_mfma_i32_16x16x32_i8 v[228:231], a[132:133], v[160:161], v[228:231]// 00000000631C: D3D700E4 0F934184
	v_mfma_i32_16x16x32_i8 v[228:231], a[134:135], v[162:163], v[228:231]// 000000006324: D3D700E4 0F934586
	v_mfma_i32_16x16x32_i8 v[232:235], a[136:137], v[132:133], v[232:235]// 00000000632C: D3D700E8 0FA30988
	v_mfma_i32_16x16x32_i8 v[232:235], a[138:139], v[134:135], v[232:235]// 000000006334: D3D700E8 0FA30D8A
	buffer_load_dwordx4 a[24:27], v43, s[12:15], 0 offen       // 00000000633C: E05C1000 8083182B
	v_mfma_i32_16x16x32_i8 v[236:239], a[136:137], v[160:161], v[236:239]// 000000006344: D3D700EC 0FB34188
	v_mfma_i32_16x16x32_i8 v[236:239], a[138:139], v[162:163], v[236:239]// 00000000634C: D3D700EC 0FB3458A
	v_mfma_i32_16x16x32_i8 v[240:243], a[140:141], v[132:133], v[240:243]// 000000006354: D3D700F0 0FC3098C
	v_mfma_i32_16x16x32_i8 v[240:243], a[142:143], v[134:135], v[240:243]// 00000000635C: D3D700F0 0FC30D8E
	buffer_load_dwordx4 a[28:31], v44, s[12:15], 0 offen       // 000000006364: E05C1000 80831C2C
	s_add_u32 s12, s78, s12                                    // 00000000636C: 800C0C4E
	s_addc_u32 s13, 0, s13                                     // 000000006370: 820D0D80
	v_mfma_i32_16x16x32_i8 v[244:247], a[140:141], v[160:161], v[244:247]// 000000006374: D3D700F4 0FD3418C
	v_mfma_i32_16x16x32_i8 v[244:247], a[142:143], v[162:163], v[244:247]// 00000000637C: D3D700F4 0FD3458E
	s_waitcnt vmcnt(41)                                        // 000000006384: BF8C8F79
	v_mfma_i32_16x16x32_i8 v[216:219], a[144:145], v[136:137], v[216:219]// 000000006388: D3D700D8 0F631190
	v_mfma_i32_16x16x32_i8 v[216:219], a[146:147], v[138:139], v[216:219]// 000000006390: D3D700D8 0F631592
	buffer_load_dwordx4 a[32:35], v41, s[12:15], 0 offen       // 000000006398: E05C1000 80832029
	v_mfma_i32_16x16x32_i8 v[220:223], a[144:145], v[164:165], v[220:223]// 0000000063A0: D3D700DC 0F734990
	v_mfma_i32_16x16x32_i8 v[220:223], a[146:147], v[166:167], v[220:223]// 0000000063A8: D3D700DC 0F734D92
	v_mfma_i32_16x16x32_i8 v[224:227], a[148:149], v[136:137], v[224:227]// 0000000063B0: D3D700E0 0F831194
	v_mfma_i32_16x16x32_i8 v[224:227], a[150:151], v[138:139], v[224:227]// 0000000063B8: D3D700E0 0F831596
	buffer_load_dwordx4 a[36:39], v42, s[12:15], 0 offen       // 0000000063C0: E05C1000 8083242A
	v_mfma_i32_16x16x32_i8 v[228:231], a[148:149], v[164:165], v[228:231]// 0000000063C8: D3D700E4 0F934994
	v_mfma_i32_16x16x32_i8 v[228:231], a[150:151], v[166:167], v[228:231]// 0000000063D0: D3D700E4 0F934D96
	v_mfma_i32_16x16x32_i8 v[232:235], a[152:153], v[136:137], v[232:235]// 0000000063D8: D3D700E8 0FA31198
	v_mfma_i32_16x16x32_i8 v[232:235], a[154:155], v[138:139], v[232:235]// 0000000063E0: D3D700E8 0FA3159A
	buffer_load_dwordx4 a[40:43], v43, s[12:15], 0 offen       // 0000000063E8: E05C1000 8083282B
	v_mfma_i32_16x16x32_i8 v[236:239], a[152:153], v[164:165], v[236:239]// 0000000063F0: D3D700EC 0FB34998
	v_mfma_i32_16x16x32_i8 v[236:239], a[154:155], v[166:167], v[236:239]// 0000000063F8: D3D700EC 0FB34D9A
	v_mfma_i32_16x16x32_i8 v[240:243], a[156:157], v[136:137], v[240:243]// 000000006400: D3D700F0 0FC3119C
	v_mfma_i32_16x16x32_i8 v[240:243], a[158:159], v[138:139], v[240:243]// 000000006408: D3D700F0 0FC3159E
	buffer_load_dwordx4 a[44:47], v44, s[12:15], 0 offen       // 000000006410: E05C1000 80832C2C
	s_add_u32 s12, s78, s12                                    // 000000006418: 800C0C4E
	s_addc_u32 s13, 0, s13                                     // 00000000641C: 820D0D80
	v_mfma_i32_16x16x32_i8 v[244:247], a[156:157], v[164:165], v[244:247]// 000000006420: D3D700F4 0FD3499C
	v_mfma_i32_16x16x32_i8 v[244:247], a[158:159], v[166:167], v[244:247]// 000000006428: D3D700F4 0FD34D9E
	s_waitcnt vmcnt(41)                                        // 000000006430: BF8C8F79
	v_mfma_i32_16x16x32_i8 v[216:219], a[160:161], v[140:141], v[216:219]// 000000006434: D3D700D8 0F6319A0
	v_mfma_i32_16x16x32_i8 v[216:219], a[162:163], v[142:143], v[216:219]// 00000000643C: D3D700D8 0F631DA2
	buffer_load_dwordx4 a[48:51], v41, s[12:15], 0 offen       // 000000006444: E05C1000 80833029
	v_mfma_i32_16x16x32_i8 v[220:223], a[160:161], v[168:169], v[220:223]// 00000000644C: D3D700DC 0F7351A0
	v_mfma_i32_16x16x32_i8 v[220:223], a[162:163], v[170:171], v[220:223]// 000000006454: D3D700DC 0F7355A2
	v_mfma_i32_16x16x32_i8 v[224:227], a[164:165], v[140:141], v[224:227]// 00000000645C: D3D700E0 0F8319A4
	v_mfma_i32_16x16x32_i8 v[224:227], a[166:167], v[142:143], v[224:227]// 000000006464: D3D700E0 0F831DA6
	buffer_load_dwordx4 a[52:55], v42, s[12:15], 0 offen       // 00000000646C: E05C1000 8083342A
	v_mfma_i32_16x16x32_i8 v[228:231], a[164:165], v[168:169], v[228:231]// 000000006474: D3D700E4 0F9351A4
	v_mfma_i32_16x16x32_i8 v[228:231], a[166:167], v[170:171], v[228:231]// 00000000647C: D3D700E4 0F9355A6
	v_mfma_i32_16x16x32_i8 v[232:235], a[168:169], v[140:141], v[232:235]// 000000006484: D3D700E8 0FA319A8
	v_mfma_i32_16x16x32_i8 v[232:235], a[170:171], v[142:143], v[232:235]// 00000000648C: D3D700E8 0FA31DAA
	buffer_load_dwordx4 a[56:59], v43, s[12:15], 0 offen       // 000000006494: E05C1000 8083382B
	v_mfma_i32_16x16x32_i8 v[236:239], a[168:169], v[168:169], v[236:239]// 00000000649C: D3D700EC 0FB351A8
	v_mfma_i32_16x16x32_i8 v[236:239], a[170:171], v[170:171], v[236:239]// 0000000064A4: D3D700EC 0FB355AA
	v_mfma_i32_16x16x32_i8 v[240:243], a[172:173], v[140:141], v[240:243]// 0000000064AC: D3D700F0 0FC319AC
	v_mfma_i32_16x16x32_i8 v[240:243], a[174:175], v[142:143], v[240:243]// 0000000064B4: D3D700F0 0FC31DAE
	buffer_load_dwordx4 a[60:63], v44, s[12:15], 0 offen       // 0000000064BC: E05C1000 80833C2C
	s_add_u32 s12, s78, s12                                    // 0000000064C4: 800C0C4E
	s_addc_u32 s13, 0, s13                                     // 0000000064C8: 820D0D80
	v_mfma_i32_16x16x32_i8 v[244:247], a[172:173], v[168:169], v[244:247]// 0000000064CC: D3D700F4 0FD351AC
	v_mfma_i32_16x16x32_i8 v[244:247], a[174:175], v[170:171], v[244:247]// 0000000064D4: D3D700F4 0FD355AE
	s_waitcnt vmcnt(41)                                        // 0000000064DC: BF8C8F79
	v_mfma_i32_16x16x32_i8 v[216:219], a[176:177], v[144:145], v[216:219]// 0000000064E0: D3D700D8 0F6321B0
	v_mfma_i32_16x16x32_i8 v[216:219], a[178:179], v[146:147], v[216:219]// 0000000064E8: D3D700D8 0F6325B2
	buffer_load_dwordx4 a[64:67], v41, s[12:15], 0 offen       // 0000000064F0: E05C1000 80834029
	v_mfma_i32_16x16x32_i8 v[220:223], a[176:177], v[172:173], v[220:223]// 0000000064F8: D3D700DC 0F7359B0
	v_mfma_i32_16x16x32_i8 v[220:223], a[178:179], v[174:175], v[220:223]// 000000006500: D3D700DC 0F735DB2
	v_mfma_i32_16x16x32_i8 v[224:227], a[180:181], v[144:145], v[224:227]// 000000006508: D3D700E0 0F8321B4
	v_mfma_i32_16x16x32_i8 v[224:227], a[182:183], v[146:147], v[224:227]// 000000006510: D3D700E0 0F8325B6
	buffer_load_dwordx4 a[68:71], v42, s[12:15], 0 offen       // 000000006518: E05C1000 8083442A
	v_mfma_i32_16x16x32_i8 v[228:231], a[180:181], v[172:173], v[228:231]// 000000006520: D3D700E4 0F9359B4
	v_mfma_i32_16x16x32_i8 v[228:231], a[182:183], v[174:175], v[228:231]// 000000006528: D3D700E4 0F935DB6
	v_mfma_i32_16x16x32_i8 v[232:235], a[184:185], v[144:145], v[232:235]// 000000006530: D3D700E8 0FA321B8
	v_mfma_i32_16x16x32_i8 v[232:235], a[186:187], v[146:147], v[232:235]// 000000006538: D3D700E8 0FA325BA
	buffer_load_dwordx4 a[72:75], v43, s[12:15], 0 offen       // 000000006540: E05C1000 8083482B
	v_mfma_i32_16x16x32_i8 v[236:239], a[184:185], v[172:173], v[236:239]// 000000006548: D3D700EC 0FB359B8
	v_mfma_i32_16x16x32_i8 v[236:239], a[186:187], v[174:175], v[236:239]// 000000006550: D3D700EC 0FB35DBA
	v_mfma_i32_16x16x32_i8 v[240:243], a[188:189], v[144:145], v[240:243]// 000000006558: D3D700F0 0FC321BC
	v_mfma_i32_16x16x32_i8 v[240:243], a[190:191], v[146:147], v[240:243]// 000000006560: D3D700F0 0FC325BE
	buffer_load_dwordx4 a[76:79], v44, s[12:15], 0 offen       // 000000006568: E05C1000 80834C2C
	s_add_u32 s12, s78, s12                                    // 000000006570: 800C0C4E
	s_addc_u32 s13, 0, s13                                     // 000000006574: 820D0D80
	v_mfma_i32_16x16x32_i8 v[244:247], a[188:189], v[172:173], v[244:247]// 000000006578: D3D700F4 0FD359BC
	v_mfma_i32_16x16x32_i8 v[244:247], a[190:191], v[174:175], v[244:247]// 000000006580: D3D700F4 0FD35DBE
	s_waitcnt vmcnt(41)                                        // 000000006588: BF8C8F79
	v_mfma_i32_16x16x32_i8 v[216:219], a[192:193], v[148:149], v[216:219]// 00000000658C: D3D700D8 0F6329C0
	v_mfma_i32_16x16x32_i8 v[216:219], a[194:195], v[150:151], v[216:219]// 000000006594: D3D700D8 0F632DC2
	buffer_load_dwordx4 a[80:83], v41, s[12:15], 0 offen       // 00000000659C: E05C1000 80835029
	v_mfma_i32_16x16x32_i8 v[220:223], a[192:193], v[176:177], v[220:223]// 0000000065A4: D3D700DC 0F7361C0
	v_mfma_i32_16x16x32_i8 v[220:223], a[194:195], v[178:179], v[220:223]// 0000000065AC: D3D700DC 0F7365C2
	v_mfma_i32_16x16x32_i8 v[224:227], a[196:197], v[148:149], v[224:227]// 0000000065B4: D3D700E0 0F8329C4
	v_mfma_i32_16x16x32_i8 v[224:227], a[198:199], v[150:151], v[224:227]// 0000000065BC: D3D700E0 0F832DC6
	buffer_load_dwordx4 a[84:87], v42, s[12:15], 0 offen       // 0000000065C4: E05C1000 8083542A
	v_mfma_i32_16x16x32_i8 v[228:231], a[196:197], v[176:177], v[228:231]// 0000000065CC: D3D700E4 0F9361C4
	v_mfma_i32_16x16x32_i8 v[228:231], a[198:199], v[178:179], v[228:231]// 0000000065D4: D3D700E4 0F9365C6
	v_mfma_i32_16x16x32_i8 v[232:235], a[200:201], v[148:149], v[232:235]// 0000000065DC: D3D700E8 0FA329C8
	v_mfma_i32_16x16x32_i8 v[232:235], a[202:203], v[150:151], v[232:235]// 0000000065E4: D3D700E8 0FA32DCA
	buffer_load_dwordx4 a[88:91], v43, s[12:15], 0 offen       // 0000000065EC: E05C1000 8083582B
	v_mfma_i32_16x16x32_i8 v[236:239], a[200:201], v[176:177], v[236:239]// 0000000065F4: D3D700EC 0FB361C8
	v_mfma_i32_16x16x32_i8 v[236:239], a[202:203], v[178:179], v[236:239]// 0000000065FC: D3D700EC 0FB365CA
	v_mfma_i32_16x16x32_i8 v[240:243], a[204:205], v[148:149], v[240:243]// 000000006604: D3D700F0 0FC329CC
	v_mfma_i32_16x16x32_i8 v[240:243], a[206:207], v[150:151], v[240:243]// 00000000660C: D3D700F0 0FC32DCE
	buffer_load_dwordx4 a[92:95], v44, s[12:15], 0 offen       // 000000006614: E05C1000 80835C2C
	s_add_u32 s12, s78, s12                                    // 00000000661C: 800C0C4E
	s_addc_u32 s13, 0, s13                                     // 000000006620: 820D0D80
	v_mfma_i32_16x16x32_i8 v[244:247], a[204:205], v[176:177], v[244:247]// 000000006624: D3D700F4 0FD361CC
	v_mfma_i32_16x16x32_i8 v[244:247], a[206:207], v[178:179], v[244:247]// 00000000662C: D3D700F4 0FD365CE
	s_waitcnt vmcnt(40)                                        // 000000006634: BF8C8F78
	v_mfma_i32_16x16x32_i8 v[216:219], a[208:209], v[152:153], v[216:219]// 000000006638: D3D700D8 0F6331D0
	v_mfma_i32_16x16x32_i8 v[216:219], a[210:211], v[154:155], v[216:219]// 000000006640: D3D700D8 0F6335D2
	buffer_load_dwordx4 a[96:99], v41, s[12:15], 0 offen       // 000000006648: E05C1000 80836029
	v_mfma_i32_16x16x32_i8 v[220:223], a[208:209], v[180:181], v[220:223]// 000000006650: D3D700DC 0F7369D0
	v_mfma_i32_16x16x32_i8 v[220:223], a[210:211], v[182:183], v[220:223]// 000000006658: D3D700DC 0F736DD2
	buffer_load_dword v12, v5, s[16:19], 0 offen               // 000000006660: E0501000 80040C05
	v_mfma_i32_16x16x32_i8 v[224:227], a[212:213], v[152:153], v[224:227]// 000000006668: D3D700E0 0F8331D4
	v_mfma_i32_16x16x32_i8 v[224:227], a[214:215], v[154:155], v[224:227]// 000000006670: D3D700E0 0F8335D6
	buffer_load_dwordx4 a[100:103], v42, s[12:15], 0 offen     // 000000006678: E05C1000 8083642A
	v_mfma_i32_16x16x32_i8 v[228:231], a[212:213], v[180:181], v[228:231]// 000000006680: D3D700E4 0F9369D4
	v_mfma_i32_16x16x32_i8 v[228:231], a[214:215], v[182:183], v[228:231]// 000000006688: D3D700E4 0F936DD6
	v_mfma_i32_16x16x32_i8 v[232:235], a[216:217], v[152:153], v[232:235]// 000000006690: D3D700E8 0FA331D8
	v_mfma_i32_16x16x32_i8 v[232:235], a[218:219], v[154:155], v[232:235]// 000000006698: D3D700E8 0FA335DA
	buffer_load_dwordx4 a[104:107], v43, s[12:15], 0 offen     // 0000000066A0: E05C1000 8083682B
	v_mfma_i32_16x16x32_i8 v[236:239], a[216:217], v[180:181], v[236:239]// 0000000066A8: D3D700EC 0FB369D8
	v_mfma_i32_16x16x32_i8 v[236:239], a[218:219], v[182:183], v[236:239]// 0000000066B0: D3D700EC 0FB36DDA
	v_mfma_i32_16x16x32_i8 v[240:243], a[220:221], v[152:153], v[240:243]// 0000000066B8: D3D700F0 0FC331DC
	v_mfma_i32_16x16x32_i8 v[240:243], a[222:223], v[154:155], v[240:243]// 0000000066C0: D3D700F0 0FC335DE
	buffer_load_dwordx4 a[108:111], v44, s[12:15], 0 offen     // 0000000066C8: E05C1000 80836C2C
	v_mfma_i32_16x16x32_i8 v[244:247], a[220:221], v[180:181], v[244:247]// 0000000066D0: D3D700F4 0FD369DC
	v_mfma_i32_16x16x32_i8 v[244:247], a[222:223], v[182:183], v[244:247]// 0000000066D8: D3D700F4 0FD36DDE
	s_add_u32 s60, 0x200, s80                                  // 0000000066E0: 803C50FF 00000200
	s_cmp_lt_u32 s60, s81                                      // 0000000066E8: BF0A513C
	s_cselect_b32 s56, s56, 0                                  // 0000000066EC: 85388038
	s_cselect_b32 s78, s78, 0                                  // 0000000066F0: 854E804E
	s_cselect_b32 s79, s79, 0                                  // 0000000066F4: 854F804F
	s_add_u32 s12, s56, s12                                    // 0000000066F8: 800C0C38
	s_addc_u32 s13, 0, s13                                     // 0000000066FC: 820D0D80
	s_add_u32 s16, s79, s16                                    // 000000006700: 8010104F
	s_addc_u32 s17, 0, s17                                     // 000000006704: 82111180
	v_cvt_f32_i32_e32 v216, v216                               // 000000006708: 7FB00BD8
	v_cvt_f32_i32_e32 v217, v217                               // 00000000670C: 7FB20BD9
	v_cvt_f32_i32_e32 v218, v218                               // 000000006710: 7FB40BDA
	v_cvt_f32_i32_e32 v219, v219                               // 000000006714: 7FB60BDB
	v_mul_f32_e32 v216, v24, v216                              // 000000006718: 0BB1B118
	v_mul_f32_e32 v217, v24, v217                              // 00000000671C: 0BB3B318
	v_mul_f32_e32 v218, v24, v218                              // 000000006720: 0BB5B518
	v_mul_f32_e32 v219, v24, v219                              // 000000006724: 0BB7B718
	v_mul_f32_dpp v216, v13, v216 row_newbcast:0 row_mask:0xf bank_mask:0xf// 000000006728: 0BB1B0FA FF01500D
	v_mul_f32_dpp v217, v13, v217 row_newbcast:1 row_mask:0xf bank_mask:0xf// 000000006730: 0BB3B2FA FF01510D
	v_mul_f32_dpp v218, v13, v218 row_newbcast:2 row_mask:0xf bank_mask:0xf// 000000006738: 0BB5B4FA FF01520D
	v_mul_f32_dpp v219, v13, v219 row_newbcast:3 row_mask:0xf bank_mask:0xf// 000000006740: 0BB7B6FA FF01530D
	v_mul_f32_e32 v216, v20, v216                              // 000000006748: 0BB1B114
	v_mul_f32_e32 v217, v20, v217                              // 00000000674C: 0BB3B314
	v_mul_f32_e32 v218, v20, v218                              // 000000006750: 0BB5B514
	v_mul_f32_e32 v219, v20, v219                              // 000000006754: 0BB7B714
	v_cvt_f32_i32_e32 v220, v220                               // 000000006758: 7FB80BDC
	v_cvt_f32_i32_e32 v221, v221                               // 00000000675C: 7FBA0BDD
	v_cvt_f32_i32_e32 v222, v222                               // 000000006760: 7FBC0BDE
	v_cvt_f32_i32_e32 v223, v223                               // 000000006764: 7FBE0BDF
	v_mul_f32_e32 v220, v25, v220                              // 000000006768: 0BB9B919
	v_mul_f32_e32 v221, v25, v221                              // 00000000676C: 0BBBBB19
	v_mul_f32_e32 v222, v25, v222                              // 000000006770: 0BBDBD19
	v_mul_f32_e32 v223, v25, v223                              // 000000006774: 0BBFBF19
	v_mul_f32_dpp v220, v13, v220 row_newbcast:0 row_mask:0xf bank_mask:0xf// 000000006778: 0BB9B8FA FF01500D
	v_mul_f32_dpp v221, v13, v221 row_newbcast:1 row_mask:0xf bank_mask:0xf// 000000006780: 0BBBBAFA FF01510D
	v_mul_f32_dpp v222, v13, v222 row_newbcast:2 row_mask:0xf bank_mask:0xf// 000000006788: 0BBDBCFA FF01520D
	v_mul_f32_dpp v223, v13, v223 row_newbcast:3 row_mask:0xf bank_mask:0xf// 000000006790: 0BBFBEFA FF01530D
	v_mul_f32_e32 v220, v21, v220                              // 000000006798: 0BB9B915
	v_mul_f32_e32 v221, v21, v221                              // 00000000679C: 0BBBBB15
	v_mul_f32_e32 v222, v21, v222                              // 0000000067A0: 0BBDBD15
	v_mul_f32_e32 v223, v21, v223                              // 0000000067A4: 0BBFBF15
	v_cvt_f32_i32_e32 v224, v224                               // 0000000067A8: 7FC00BE0
	v_cvt_f32_i32_e32 v225, v225                               // 0000000067AC: 7FC20BE1
	v_cvt_f32_i32_e32 v226, v226                               // 0000000067B0: 7FC40BE2
	v_cvt_f32_i32_e32 v227, v227                               // 0000000067B4: 7FC60BE3
	v_mul_f32_e32 v224, v24, v224                              // 0000000067B8: 0BC1C118
	v_mul_f32_e32 v225, v24, v225                              // 0000000067BC: 0BC3C318
	v_mul_f32_e32 v226, v24, v226                              // 0000000067C0: 0BC5C518
	v_mul_f32_e32 v227, v24, v227                              // 0000000067C4: 0BC7C718
	v_mul_f32_dpp v224, v13, v224 row_newbcast:4 row_mask:0xf bank_mask:0xf// 0000000067C8: 0BC1C0FA FF01540D
	v_mul_f32_dpp v225, v13, v225 row_newbcast:5 row_mask:0xf bank_mask:0xf// 0000000067D0: 0BC3C2FA FF01550D
	v_mul_f32_dpp v226, v13, v226 row_newbcast:6 row_mask:0xf bank_mask:0xf// 0000000067D8: 0BC5C4FA FF01560D
	v_mul_f32_dpp v227, v13, v227 row_newbcast:7 row_mask:0xf bank_mask:0xf// 0000000067E0: 0BC7C6FA FF01570D
	v_mul_f32_e32 v224, v20, v224                              // 0000000067E8: 0BC1C114
	v_mul_f32_e32 v225, v20, v225                              // 0000000067EC: 0BC3C314
	v_mul_f32_e32 v226, v20, v226                              // 0000000067F0: 0BC5C514
	v_mul_f32_e32 v227, v20, v227                              // 0000000067F4: 0BC7C714
	v_cvt_f32_i32_e32 v228, v228                               // 0000000067F8: 7FC80BE4
	v_cvt_f32_i32_e32 v229, v229                               // 0000000067FC: 7FCA0BE5
	v_cvt_f32_i32_e32 v230, v230                               // 000000006800: 7FCC0BE6
	v_cvt_f32_i32_e32 v231, v231                               // 000000006804: 7FCE0BE7
	v_mul_f32_e32 v228, v25, v228                              // 000000006808: 0BC9C919
	v_mul_f32_e32 v229, v25, v229                              // 00000000680C: 0BCBCB19
	v_mul_f32_e32 v230, v25, v230                              // 000000006810: 0BCDCD19
	v_mul_f32_e32 v231, v25, v231                              // 000000006814: 0BCFCF19
	v_mul_f32_dpp v228, v13, v228 row_newbcast:4 row_mask:0xf bank_mask:0xf// 000000006818: 0BC9C8FA FF01540D
	v_mul_f32_dpp v229, v13, v229 row_newbcast:5 row_mask:0xf bank_mask:0xf// 000000006820: 0BCBCAFA FF01550D
	v_mul_f32_dpp v230, v13, v230 row_newbcast:6 row_mask:0xf bank_mask:0xf// 000000006828: 0BCDCCFA FF01560D
	v_mul_f32_dpp v231, v13, v231 row_newbcast:7 row_mask:0xf bank_mask:0xf// 000000006830: 0BCFCEFA FF01570D
	v_mul_f32_e32 v228, v21, v228                              // 000000006838: 0BC9C915
	v_mul_f32_e32 v229, v21, v229                              // 00000000683C: 0BCBCB15
	v_mul_f32_e32 v230, v21, v230                              // 000000006840: 0BCDCD15
	v_mul_f32_e32 v231, v21, v231                              // 000000006844: 0BCFCF15
	v_cvt_f32_i32_e32 v232, v232                               // 000000006848: 7FD00BE8
	v_cvt_f32_i32_e32 v233, v233                               // 00000000684C: 7FD20BE9
	v_cvt_f32_i32_e32 v234, v234                               // 000000006850: 7FD40BEA
	v_cvt_f32_i32_e32 v235, v235                               // 000000006854: 7FD60BEB
	v_mul_f32_e32 v232, v24, v232                              // 000000006858: 0BD1D118
	v_mul_f32_e32 v233, v24, v233                              // 00000000685C: 0BD3D318
	v_mul_f32_e32 v234, v24, v234                              // 000000006860: 0BD5D518
	v_mul_f32_e32 v235, v24, v235                              // 000000006864: 0BD7D718
	v_mul_f32_dpp v232, v13, v232 row_newbcast:8 row_mask:0xf bank_mask:0xf// 000000006868: 0BD1D0FA FF01580D
	v_mul_f32_dpp v233, v13, v233 row_newbcast:9 row_mask:0xf bank_mask:0xf// 000000006870: 0BD3D2FA FF01590D
	v_mul_f32_dpp v234, v13, v234 row_newbcast:10 row_mask:0xf bank_mask:0xf// 000000006878: 0BD5D4FA FF015A0D
	v_mul_f32_dpp v235, v13, v235 row_newbcast:11 row_mask:0xf bank_mask:0xf// 000000006880: 0BD7D6FA FF015B0D
	v_mul_f32_e32 v232, v20, v232                              // 000000006888: 0BD1D114
	v_mul_f32_e32 v233, v20, v233                              // 00000000688C: 0BD3D314
	v_mul_f32_e32 v234, v20, v234                              // 000000006890: 0BD5D514
	v_mul_f32_e32 v235, v20, v235                              // 000000006894: 0BD7D714
	v_cvt_f32_i32_e32 v236, v236                               // 000000006898: 7FD80BEC
	v_cvt_f32_i32_e32 v237, v237                               // 00000000689C: 7FDA0BED
	v_cvt_f32_i32_e32 v238, v238                               // 0000000068A0: 7FDC0BEE
	v_cvt_f32_i32_e32 v239, v239                               // 0000000068A4: 7FDE0BEF
	v_mul_f32_e32 v236, v25, v236                              // 0000000068A8: 0BD9D919
	v_mul_f32_e32 v237, v25, v237                              // 0000000068AC: 0BDBDB19
	v_mul_f32_e32 v238, v25, v238                              // 0000000068B0: 0BDDDD19
	v_mul_f32_e32 v239, v25, v239                              // 0000000068B4: 0BDFDF19
	v_mul_f32_dpp v236, v13, v236 row_newbcast:8 row_mask:0xf bank_mask:0xf// 0000000068B8: 0BD9D8FA FF01580D
	v_mul_f32_dpp v237, v13, v237 row_newbcast:9 row_mask:0xf bank_mask:0xf// 0000000068C0: 0BDBDAFA FF01590D
	v_mul_f32_dpp v238, v13, v238 row_newbcast:10 row_mask:0xf bank_mask:0xf// 0000000068C8: 0BDDDCFA FF015A0D
	v_mul_f32_dpp v239, v13, v239 row_newbcast:11 row_mask:0xf bank_mask:0xf// 0000000068D0: 0BDFDEFA FF015B0D
	v_mul_f32_e32 v236, v21, v236                              // 0000000068D8: 0BD9D915
	v_mul_f32_e32 v237, v21, v237                              // 0000000068DC: 0BDBDB15
	v_mul_f32_e32 v238, v21, v238                              // 0000000068E0: 0BDDDD15
	v_mul_f32_e32 v239, v21, v239                              // 0000000068E4: 0BDFDF15
	v_cvt_f32_i32_e32 v240, v240                               // 0000000068E8: 7FE00BF0
	v_cvt_f32_i32_e32 v241, v241                               // 0000000068EC: 7FE20BF1
	v_cvt_f32_i32_e32 v242, v242                               // 0000000068F0: 7FE40BF2
	v_cvt_f32_i32_e32 v243, v243                               // 0000000068F4: 7FE60BF3
	v_mul_f32_e32 v240, v24, v240                              // 0000000068F8: 0BE1E118
	v_mul_f32_e32 v241, v24, v241                              // 0000000068FC: 0BE3E318
	v_mul_f32_e32 v242, v24, v242                              // 000000006900: 0BE5E518
	v_mul_f32_e32 v243, v24, v243                              // 000000006904: 0BE7E718
	v_mul_f32_dpp v240, v13, v240 row_newbcast:12 row_mask:0xf bank_mask:0xf// 000000006908: 0BE1E0FA FF015C0D
	v_mul_f32_dpp v241, v13, v241 row_newbcast:13 row_mask:0xf bank_mask:0xf// 000000006910: 0BE3E2FA FF015D0D
	v_mul_f32_dpp v242, v13, v242 row_newbcast:14 row_mask:0xf bank_mask:0xf// 000000006918: 0BE5E4FA FF015E0D
	v_mul_f32_dpp v243, v13, v243 row_newbcast:15 row_mask:0xf bank_mask:0xf// 000000006920: 0BE7E6FA FF015F0D
	v_mul_f32_e32 v240, v20, v240                              // 000000006928: 0BE1E114
	v_mul_f32_e32 v241, v20, v241                              // 00000000692C: 0BE3E314
	v_mul_f32_e32 v242, v20, v242                              // 000000006930: 0BE5E514
	v_mul_f32_e32 v243, v20, v243                              // 000000006934: 0BE7E714
	v_cvt_f32_i32_e32 v244, v244                               // 000000006938: 7FE80BF4
	v_cvt_f32_i32_e32 v245, v245                               // 00000000693C: 7FEA0BF5
	v_cvt_f32_i32_e32 v246, v246                               // 000000006940: 7FEC0BF6
	v_cvt_f32_i32_e32 v247, v247                               // 000000006944: 7FEE0BF7
	v_mul_f32_e32 v244, v25, v244                              // 000000006948: 0BE9E919
	v_mul_f32_e32 v245, v25, v245                              // 00000000694C: 0BEBEB19
	v_mul_f32_e32 v246, v25, v246                              // 000000006950: 0BEDED19
	v_mul_f32_e32 v247, v25, v247                              // 000000006954: 0BEFEF19
	v_mul_f32_dpp v244, v13, v244 row_newbcast:12 row_mask:0xf bank_mask:0xf// 000000006958: 0BE9E8FA FF015C0D
	v_mul_f32_dpp v245, v13, v245 row_newbcast:13 row_mask:0xf bank_mask:0xf// 000000006960: 0BEBEAFA FF015D0D
	v_mul_f32_dpp v246, v13, v246 row_newbcast:14 row_mask:0xf bank_mask:0xf// 000000006968: 0BEDECFA FF015E0D
	v_mul_f32_dpp v247, v13, v247 row_newbcast:15 row_mask:0xf bank_mask:0xf// 000000006970: 0BEFEEFA FF015F0D
	v_mul_f32_e32 v244, v21, v244                              // 000000006978: 0BE9E915
	v_mul_f32_e32 v245, v21, v245                              // 00000000697C: 0BEBEB15
	v_mul_f32_e32 v246, v21, v246                              // 000000006980: 0BEDED15
	v_mul_f32_e32 v247, v21, v247                              // 000000006984: 0BEFEF15
	v_cvt_pkrtz_f16_f32 v216, v216, v217                       // 000000006988: D29600D8 0003B3D8
	v_cvt_pkrtz_f16_f32 v217, v218, v219                       // 000000006990: D29600D9 0003B7DA
	v_cvt_pkrtz_f16_f32 v218, v220, v221                       // 000000006998: D29600DA 0003BBDC
	v_cvt_pkrtz_f16_f32 v219, v222, v223                       // 0000000069A0: D29600DB 0003BFDE
	v_cvt_pkrtz_f16_f32 v220, v224, v225                       // 0000000069A8: D29600DC 0003C3E0
	v_cvt_pkrtz_f16_f32 v221, v226, v227                       // 0000000069B0: D29600DD 0003C7E2
	v_cvt_pkrtz_f16_f32 v222, v228, v229                       // 0000000069B8: D29600DE 0003CBE4
	v_cvt_pkrtz_f16_f32 v223, v230, v231                       // 0000000069C0: D29600DF 0003CFE6
	v_cvt_pkrtz_f16_f32 v224, v232, v233                       // 0000000069C8: D29600E0 0003D3E8
	v_cvt_pkrtz_f16_f32 v225, v234, v235                       // 0000000069D0: D29600E1 0003D7EA
	v_cvt_pkrtz_f16_f32 v226, v236, v237                       // 0000000069D8: D29600E2 0003DBEC
	v_cvt_pkrtz_f16_f32 v227, v238, v239                       // 0000000069E0: D29600E3 0003DFEE
	v_cvt_pkrtz_f16_f32 v228, v240, v241                       // 0000000069E8: D29600E4 0003E3F0
	v_cvt_pkrtz_f16_f32 v229, v242, v243                       // 0000000069F0: D29600E5 0003E7F2
	v_cvt_pkrtz_f16_f32 v230, v244, v245                       // 0000000069F8: D29600E6 0003EBF4
	v_cvt_pkrtz_f16_f32 v231, v246, v247                       // 000000006A00: D29600E7 0003EFF6
	ds_write_b64 v3, v[216:217] offset:33024                   // 000000006A08: D89A8100 0000D803
	ds_write_b64 v3, v[218:219] offset:41728                   // 000000006A10: D89AA300 0000DA03
	ds_write_b64 v3, v[220:221] offset:35200                   // 000000006A18: D89A8980 0000DC03
	ds_write_b64 v3, v[222:223] offset:43904                   // 000000006A20: D89AAB80 0000DE03
	ds_write_b64 v3, v[224:225] offset:37376                   // 000000006A28: D89A9200 0000E003
	ds_write_b64 v3, v[226:227] offset:46080                   // 000000006A30: D89AB400 0000E203
	ds_write_b64 v3, v[228:229] offset:39552                   // 000000006A38: D89A9A80 0000E403
	ds_write_b64 v3, v[230:231] offset:48256                   // 000000006A40: D89ABC80 0000E603
	s_waitcnt lgkmcnt(0)                                       // 000000006A48: BF8CC07F
	s_barrier                                                  // 000000006A4C: BF8A0000
	ds_read_b32 v64, v4 offset:33024                           // 000000006A50: D86C8100 40000004
	ds_read_b32 v65, v4 offset:37376                           // 000000006A58: D86C9200 41000004
	ds_read_b32 v66, v4 offset:33056                           // 000000006A60: D86C8120 42000004
	ds_read_b32 v67, v4 offset:37408                           // 000000006A68: D86C9220 43000004
	ds_read_b32 v68, v4 offset:33088                           // 000000006A70: D86C8140 44000004
	ds_read_b32 v69, v4 offset:37440                           // 000000006A78: D86C9240 45000004
	ds_read_b32 v70, v4 offset:33120                           // 000000006A80: D86C8160 46000004
	ds_read_b32 v71, v4 offset:37472                           // 000000006A88: D86C9260 47000004
	ds_read_b32 v72, v4 offset:41728                           // 000000006A90: D86CA300 48000004
	ds_read_b32 v73, v4 offset:46080                           // 000000006A98: D86CB400 49000004
	ds_read_b32 v74, v4 offset:41760                           // 000000006AA0: D86CA320 4A000004
	ds_read_b32 v75, v4 offset:46112                           // 000000006AA8: D86CB420 4B000004
	ds_read_b32 v76, v4 offset:41792                           // 000000006AB0: D86CA340 4C000004
	ds_read_b32 v77, v4 offset:46144                           // 000000006AB8: D86CB440 4D000004
	ds_read_b32 v78, v4 offset:41824                           // 000000006AC0: D86CA360 4E000004
	ds_read_b32 v79, v4 offset:46176                           // 000000006AC8: D86CB460 4F000004
	s_waitcnt lgkmcnt(0)                                       // 000000006AD0: BF8CC07F
	s_mov_b64 exec, s[20:21]                                   // 000000006AD4: BEFE0114
	global_atomic_pk_add_f16 v80, v64, s[8:9]                  // 000000006AD8: DD388000 00084050
	s_mov_b64 exec, s[36:37]                                   // 000000006AE0: BEFE0124
	s_mov_b64 exec, s[20:21]                                   // 000000006AE4: BEFE0114
	global_atomic_pk_add_f16 v80, v65, s[8:9] offset:256       // 000000006AE8: DD388100 00084150
	s_mov_b64 exec, s[36:37]                                   // 000000006AF0: BEFE0124
	s_mov_b64 exec, s[22:23]                                   // 000000006AF4: BEFE0116
	global_atomic_pk_add_f16 v82, v66, s[8:9]                  // 000000006AF8: DD388000 00084252
	s_mov_b64 exec, s[36:37]                                   // 000000006B00: BEFE0124
	s_mov_b64 exec, s[22:23]                                   // 000000006B04: BEFE0116
	global_atomic_pk_add_f16 v82, v67, s[8:9] offset:256       // 000000006B08: DD388100 00084352
	s_mov_b64 exec, s[36:37]                                   // 000000006B10: BEFE0124
	s_mov_b64 exec, s[24:25]                                   // 000000006B14: BEFE0118
	global_atomic_pk_add_f16 v84, v68, s[8:9]                  // 000000006B18: DD388000 00084454
	s_mov_b64 exec, s[36:37]                                   // 000000006B20: BEFE0124
	s_mov_b64 exec, s[24:25]                                   // 000000006B24: BEFE0118
	global_atomic_pk_add_f16 v84, v69, s[8:9] offset:256       // 000000006B28: DD388100 00084554
	s_mov_b64 exec, s[36:37]                                   // 000000006B30: BEFE0124
	s_mov_b64 exec, s[26:27]                                   // 000000006B34: BEFE011A
	global_atomic_pk_add_f16 v86, v70, s[8:9]                  // 000000006B38: DD388000 00084656
	s_mov_b64 exec, s[36:37]                                   // 000000006B40: BEFE0124
	s_mov_b64 exec, s[26:27]                                   // 000000006B44: BEFE011A
	global_atomic_pk_add_f16 v86, v71, s[8:9] offset:256       // 000000006B48: DD388100 00084756
	s_mov_b64 exec, s[36:37]                                   // 000000006B50: BEFE0124
	s_mov_b64 exec, s[28:29]                                   // 000000006B54: BEFE011C
	global_atomic_pk_add_f16 v88, v72, s[8:9]                  // 000000006B58: DD388000 00084858
	s_mov_b64 exec, s[36:37]                                   // 000000006B60: BEFE0124
	s_mov_b64 exec, s[28:29]                                   // 000000006B64: BEFE011C
	global_atomic_pk_add_f16 v88, v73, s[8:9] offset:256       // 000000006B68: DD388100 00084958
	s_mov_b64 exec, s[36:37]                                   // 000000006B70: BEFE0124
	s_mov_b64 exec, s[30:31]                                   // 000000006B74: BEFE011E
	global_atomic_pk_add_f16 v90, v74, s[8:9]                  // 000000006B78: DD388000 00084A5A
	s_mov_b64 exec, s[36:37]                                   // 000000006B80: BEFE0124
	s_mov_b64 exec, s[30:31]                                   // 000000006B84: BEFE011E
	global_atomic_pk_add_f16 v90, v75, s[8:9] offset:256       // 000000006B88: DD388100 00084B5A
	s_mov_b64 exec, s[36:37]                                   // 000000006B90: BEFE0124
	s_mov_b64 exec, s[32:33]                                   // 000000006B94: BEFE0120
	global_atomic_pk_add_f16 v92, v76, s[8:9]                  // 000000006B98: DD388000 00084C5C
	s_mov_b64 exec, s[36:37]                                   // 000000006BA0: BEFE0124
	s_mov_b64 exec, s[32:33]                                   // 000000006BA4: BEFE0120
	global_atomic_pk_add_f16 v92, v77, s[8:9] offset:256       // 000000006BA8: DD388100 00084D5C
	s_mov_b64 exec, s[36:37]                                   // 000000006BB0: BEFE0124
	s_mov_b64 exec, s[34:35]                                   // 000000006BB4: BEFE0122
	global_atomic_pk_add_f16 v94, v78, s[8:9]                  // 000000006BB8: DD388000 00084E5E
	s_mov_b64 exec, s[36:37]                                   // 000000006BC0: BEFE0124
	s_mov_b64 exec, s[34:35]                                   // 000000006BC4: BEFE0122
	global_atomic_pk_add_f16 v94, v79, s[8:9] offset:256       // 000000006BC8: DD388100 00084F5E
	s_mov_b64 exec, s[36:37]                                   // 000000006BD0: BEFE0124
	s_add_u32 s8, s59, s8                                      // 000000006BD4: 8008083B
	s_addc_u32 s9, 0, s9                                       // 000000006BD8: 82090980
	s_addk_i32 s80, 0x100                                      // 000000006BDC: B7500100
	s_cmp_lt_i32 s80, s81                                      // 000000006BE0: BF045150
	s_cbranch_scc0 label_0F7B                                  // 000000006BE4: BF840001
	s_branch label_0A9A                                        // 000000006BE8: BF82FB1F

0000000000006bec <label_0F7B>:
	s_nop 0                                                    // 000000006BEC: BF800000
	s_nop 0                                                    // 000000006BF0: BF800000
	s_branch label_1C14                                        // 000000006BF4: BF820C96

0000000000006bf8 <label_0F7E>:
	s_waitcnt vmcnt(20) lgkmcnt(0)                             // 000000006BF8: BF8C4074
	s_barrier                                                  // 000000006BFC: BF8A0000
	v_mfma_i32_16x16x32_i8 v[128:131], a[0:1], v[184:185], v[128:131]// 000000006C00: D3D70080 0E037100
	buffer_load_dwordx4 a[112:115], v34, s[24:27], 0 offen     // 000000006C08: E05C1000 80867022
	v_mfma_i32_16x16x32_i8 v[128:131], a[2:3], v[186:187], v[128:131]// 000000006C10: D3D70080 0E037502
	v_mfma_i32_16x16x32_i8 v[128:131], a[4:5], v[188:189], v[128:131]// 000000006C18: D3D70080 0E037904
	buffer_load_dword v26, s[20:23], 0 offen lds               // 000000006C20: E0511000 8005001A
	s_add_u32 m0, 0x100, s50                                   // 000000006C28: 807C32FF 00000100
	v_mfma_i32_16x16x32_i8 v[128:131], a[6:7], v[190:191], v[128:131]// 000000006C30: D3D70080 0E037D06
	v_mfma_i32_16x16x32_i8 v[128:131], a[8:9], v[192:193], v[128:131]// 000000006C38: D3D70080 0E038108
	buffer_load_dwordx4 a[116:119], v34, s[24:27], 0 offen offset:1024// 000000006C40: E05C1400 80867422
	v_mfma_i32_16x16x32_i8 v[128:131], a[10:11], v[194:195], v[128:131]// 000000006C48: D3D70080 0E03850A
	v_mfma_i32_16x16x32_i8 v[128:131], a[12:13], v[196:197], v[128:131]// 000000006C50: D3D70080 0E03890C
	buffer_load_dword v27, s[20:23], 0 offen lds               // 000000006C58: E0511000 8005001B
	s_add_u32 m0, 0x200, s50                                   // 000000006C60: 807C32FF 00000200
	v_mfma_i32_16x16x32_i8 v[128:131], a[14:15], v[198:199], v[128:131]// 000000006C68: D3D70080 0E038D0E
	v_mfma_i32_16x16x32_i8 v[132:135], a[0:1], v[200:201], v[132:135]// 000000006C70: D3D70084 0E139100
	buffer_load_dwordx4 a[120:123], v34, s[24:27], 0 offen offset:2048// 000000006C78: E05C1800 80867822
	v_mfma_i32_16x16x32_i8 v[132:135], a[2:3], v[202:203], v[132:135]// 000000006C80: D3D70084 0E139502
	v_mfma_i32_16x16x32_i8 v[132:135], a[4:5], v[204:205], v[132:135]// 000000006C88: D3D70084 0E139904
	buffer_load_dword v28, s[20:23], 0 offen lds               // 000000006C90: E0511000 8005001C
	s_add_u32 m0, 0x300, s50                                   // 000000006C98: 807C32FF 00000300
	v_mfma_i32_16x16x32_i8 v[132:135], a[6:7], v[206:207], v[132:135]// 000000006CA0: D3D70084 0E139D06
	v_mfma_i32_16x16x32_i8 v[132:135], a[8:9], v[208:209], v[132:135]// 000000006CA8: D3D70084 0E13A108
	buffer_load_dwordx4 a[124:127], v34, s[24:27], 0 offen offset:3072// 000000006CB0: E05C1C00 80867C22
	v_mfma_i32_16x16x32_i8 v[132:135], a[10:11], v[210:211], v[132:135]// 000000006CB8: D3D70084 0E13A50A
	v_mfma_i32_16x16x32_i8 v[132:135], a[12:13], v[212:213], v[132:135]// 000000006CC0: D3D70084 0E13A90C
	buffer_load_dword v29, s[20:23], 0 offen lds               // 000000006CC8: E0511000 8005001D
	s_add_u32 m0, 0x400, s50                                   // 000000006CD0: 807C32FF 00000400
	v_mfma_i32_16x16x32_i8 v[132:135], a[14:15], v[214:215], v[132:135]// 000000006CD8: D3D70084 0E13AD0E
	v_mfma_i32_16x16x32_i8 v[136:139], a[16:17], v[184:185], v[136:139]// 000000006CE0: D3D70088 0E237110
	buffer_load_dwordx4 a[128:131], v35, s[24:27], 0 offen     // 000000006CE8: E05C1000 80868023
	v_mfma_i32_16x16x32_i8 v[136:139], a[18:19], v[186:187], v[136:139]// 000000006CF0: D3D70088 0E237512
	v_mfma_i32_16x16x32_i8 v[136:139], a[20:21], v[188:189], v[136:139]// 000000006CF8: D3D70088 0E237914
	buffer_load_dword v30, s[20:23], 0 offen lds               // 000000006D00: E0511000 8005001E
	s_add_u32 m0, 0x500, s50                                   // 000000006D08: 807C32FF 00000500
	v_mfma_i32_16x16x32_i8 v[136:139], a[22:23], v[190:191], v[136:139]// 000000006D10: D3D70088 0E237D16
	v_mfma_i32_16x16x32_i8 v[136:139], a[24:25], v[192:193], v[136:139]// 000000006D18: D3D70088 0E238118
	buffer_load_dwordx4 a[132:135], v35, s[24:27], 0 offen offset:1024// 000000006D20: E05C1400 80868423
	v_mfma_i32_16x16x32_i8 v[136:139], a[26:27], v[194:195], v[136:139]// 000000006D28: D3D70088 0E23851A
	v_mfma_i32_16x16x32_i8 v[136:139], a[28:29], v[196:197], v[136:139]// 000000006D30: D3D70088 0E23891C
	buffer_load_dword v31, s[20:23], 0 offen lds               // 000000006D38: E0511000 8005001F
	s_add_u32 m0, 0x600, s50                                   // 000000006D40: 807C32FF 00000600
	v_mfma_i32_16x16x32_i8 v[136:139], a[30:31], v[198:199], v[136:139]// 000000006D48: D3D70088 0E238D1E
	v_mfma_i32_16x16x32_i8 v[140:143], a[16:17], v[200:201], v[140:143]// 000000006D50: D3D7008C 0E339110
	buffer_load_dwordx4 a[136:139], v35, s[24:27], 0 offen offset:2048// 000000006D58: E05C1800 80868823
	v_mfma_i32_16x16x32_i8 v[140:143], a[18:19], v[202:203], v[140:143]// 000000006D60: D3D7008C 0E339512
	v_mfma_i32_16x16x32_i8 v[140:143], a[20:21], v[204:205], v[140:143]// 000000006D68: D3D7008C 0E339914
	buffer_load_dword v32, s[20:23], 0 offen lds               // 000000006D70: E0511000 80050020
	s_add_u32 m0, 0x700, s50                                   // 000000006D78: 807C32FF 00000700
	v_mfma_i32_16x16x32_i8 v[140:143], a[22:23], v[206:207], v[140:143]// 000000006D80: D3D7008C 0E339D16
	v_mfma_i32_16x16x32_i8 v[140:143], a[24:25], v[208:209], v[140:143]// 000000006D88: D3D7008C 0E33A118
	buffer_load_dwordx4 a[140:143], v35, s[24:27], 0 offen offset:3072// 000000006D90: E05C1C00 80868C23
	v_mfma_i32_16x16x32_i8 v[140:143], a[26:27], v[210:211], v[140:143]// 000000006D98: D3D7008C 0E33A51A
	v_mfma_i32_16x16x32_i8 v[140:143], a[28:29], v[212:213], v[140:143]// 000000006DA0: D3D7008C 0E33A91C
	buffer_load_dword v33, s[20:23], 0 offen lds               // 000000006DA8: E0511000 80050021
	s_add_u32 m0, 0, s51                                       // 000000006DB0: 807C3380
	v_mfma_i32_16x16x32_i8 v[140:143], a[30:31], v[214:215], v[140:143]// 000000006DB4: D3D7008C 0E33AD1E
	s_waitcnt vmcnt(32)                                        // 000000006DBC: BF8C8F70
	v_mfma_i32_16x16x32_i8 v[144:147], a[32:33], v[184:185], v[144:147]// 000000006DC0: D3D70090 0E437120
	buffer_load_dwordx4 a[144:147], v36, s[24:27], 0 offen     // 000000006DC8: E05C1000 80869024
	v_mfma_i32_16x16x32_i8 v[144:147], a[34:35], v[186:187], v[144:147]// 000000006DD0: D3D70090 0E437522
	v_mfma_i32_16x16x32_i8 v[144:147], a[36:37], v[188:189], v[144:147]// 000000006DD8: D3D70090 0E437924
	ds_read_b128 v[216:219], v2 offset:8320                    // 000000006DE0: D9FE2080 D8000002
	v_mfma_i32_16x16x32_i8 v[144:147], a[38:39], v[190:191], v[144:147]// 000000006DE8: D3D70090 0E437D26
	v_mfma_i32_16x16x32_i8 v[144:147], a[40:41], v[192:193], v[144:147]// 000000006DF0: D3D70090 0E438128
	buffer_load_dwordx4 a[148:151], v36, s[24:27], 0 offen offset:1024// 000000006DF8: E05C1400 80869424
	v_mfma_i32_16x16x32_i8 v[144:147], a[42:43], v[194:195], v[144:147]// 000000006E00: D3D70090 0E43852A
	v_mfma_i32_16x16x32_i8 v[144:147], a[44:45], v[196:197], v[144:147]// 000000006E08: D3D70090 0E43892C
	ds_read_b128 v[220:223], v2 offset:8384                    // 000000006E10: D9FE20C0 DC000002
	v_mfma_i32_16x16x32_i8 v[144:147], a[46:47], v[198:199], v[144:147]// 000000006E18: D3D70090 0E438D2E
	v_mfma_i32_16x16x32_i8 v[148:151], a[32:33], v[200:201], v[148:151]// 000000006E20: D3D70094 0E539120
	buffer_load_dwordx4 a[152:155], v36, s[24:27], 0 offen offset:2048// 000000006E28: E05C1800 80869824
	v_mfma_i32_16x16x32_i8 v[148:151], a[34:35], v[202:203], v[148:151]// 000000006E30: D3D70094 0E539522
	v_mfma_i32_16x16x32_i8 v[148:151], a[36:37], v[204:205], v[148:151]// 000000006E38: D3D70094 0E539924
	ds_read_b128 v[224:227], v2 offset:8448                    // 000000006E40: D9FE2100 E0000002
	v_mfma_i32_16x16x32_i8 v[148:151], a[38:39], v[206:207], v[148:151]// 000000006E48: D3D70094 0E539D26
	v_mfma_i32_16x16x32_i8 v[148:151], a[40:41], v[208:209], v[148:151]// 000000006E50: D3D70094 0E53A128
	buffer_load_dwordx4 a[156:159], v36, s[24:27], 0 offen offset:3072// 000000006E58: E05C1C00 80869C24
	v_mfma_i32_16x16x32_i8 v[148:151], a[42:43], v[210:211], v[148:151]// 000000006E60: D3D70094 0E53A52A
	v_mfma_i32_16x16x32_i8 v[148:151], a[44:45], v[212:213], v[148:151]// 000000006E68: D3D70094 0E53A92C
	ds_read_b128 v[228:231], v2 offset:8512                    // 000000006E70: D9FE2140 E4000002
	v_mfma_i32_16x16x32_i8 v[148:151], a[46:47], v[214:215], v[148:151]// 000000006E78: D3D70094 0E53AD2E
	s_waitcnt vmcnt(32)                                        // 000000006E80: BF8C8F70
	v_mfma_i32_16x16x32_i8 v[152:155], a[48:49], v[184:185], v[152:155]// 000000006E84: D3D70098 0E637130
	buffer_load_dwordx4 a[160:163], v37, s[24:27], 0 offen     // 000000006E8C: E05C1000 8086A025
	v_mfma_i32_16x16x32_i8 v[152:155], a[50:51], v[186:187], v[152:155]// 000000006E94: D3D70098 0E637532
	v_mfma_i32_16x16x32_i8 v[152:155], a[52:53], v[188:189], v[152:155]// 000000006E9C: D3D70098 0E637934
	ds_read_b128 v[232:235], v2 offset:9344                    // 000000006EA4: D9FE2480 E8000002
	v_mfma_i32_16x16x32_i8 v[152:155], a[54:55], v[190:191], v[152:155]// 000000006EAC: D3D70098 0E637D36
	v_mfma_i32_16x16x32_i8 v[152:155], a[56:57], v[192:193], v[152:155]// 000000006EB4: D3D70098 0E638138
	buffer_load_dwordx4 a[164:167], v37, s[24:27], 0 offen offset:1024// 000000006EBC: E05C1400 8086A425
	v_mfma_i32_16x16x32_i8 v[152:155], a[58:59], v[194:195], v[152:155]// 000000006EC4: D3D70098 0E63853A
	v_mfma_i32_16x16x32_i8 v[152:155], a[60:61], v[196:197], v[152:155]// 000000006ECC: D3D70098 0E63893C
	ds_read_b128 v[236:239], v2 offset:9408                    // 000000006ED4: D9FE24C0 EC000002
	v_mfma_i32_16x16x32_i8 v[152:155], a[62:63], v[198:199], v[152:155]// 000000006EDC: D3D70098 0E638D3E
	v_mfma_i32_16x16x32_i8 v[156:159], a[48:49], v[200:201], v[156:159]// 000000006EE4: D3D7009C 0E739130
	buffer_load_dwordx4 a[168:171], v37, s[24:27], 0 offen offset:2048// 000000006EEC: E05C1800 8086A825
	v_mfma_i32_16x16x32_i8 v[156:159], a[50:51], v[202:203], v[156:159]// 000000006EF4: D3D7009C 0E739532
	v_mfma_i32_16x16x32_i8 v[156:159], a[52:53], v[204:205], v[156:159]// 000000006EFC: D3D7009C 0E739934
	ds_read_b128 v[240:243], v2 offset:9472                    // 000000006F04: D9FE2500 F0000002
	v_mfma_i32_16x16x32_i8 v[156:159], a[54:55], v[206:207], v[156:159]// 000000006F0C: D3D7009C 0E739D36
	v_mfma_i32_16x16x32_i8 v[156:159], a[56:57], v[208:209], v[156:159]// 000000006F14: D3D7009C 0E73A138
	buffer_load_dwordx4 a[172:175], v37, s[24:27], 0 offen offset:3072// 000000006F1C: E05C1C00 8086AC25
	v_mfma_i32_16x16x32_i8 v[156:159], a[58:59], v[210:211], v[156:159]// 000000006F24: D3D7009C 0E73A53A
	v_mfma_i32_16x16x32_i8 v[156:159], a[60:61], v[212:213], v[156:159]// 000000006F2C: D3D7009C 0E73A93C
	ds_read_b128 v[244:247], v2 offset:9536                    // 000000006F34: D9FE2540 F4000002
	v_mfma_i32_16x16x32_i8 v[156:159], a[62:63], v[214:215], v[156:159]// 000000006F3C: D3D7009C 0E73AD3E
	s_waitcnt vmcnt(32)                                        // 000000006F44: BF8C8F70
	v_mfma_i32_16x16x32_i8 v[160:163], a[64:65], v[184:185], v[160:163]// 000000006F48: D3D700A0 0E837140
	buffer_load_dwordx4 a[176:179], v38, s[24:27], 0 offen     // 000000006F50: E05C1000 8086B026
	v_mfma_i32_16x16x32_i8 v[160:163], a[66:67], v[186:187], v[160:163]// 000000006F58: D3D700A0 0E837542
	v_mfma_i32_16x16x32_i8 v[160:163], a[68:69], v[188:189], v[160:163]// 000000006F60: D3D700A0 0E837944
	v_mfma_i32_16x16x32_i8 v[160:163], a[70:71], v[190:191], v[160:163]// 000000006F68: D3D700A0 0E837D46
	v_mfma_i32_16x16x32_i8 v[160:163], a[72:73], v[192:193], v[160:163]// 000000006F70: D3D700A0 0E838148
	buffer_load_dwordx4 a[180:183], v38, s[24:27], 0 offen offset:1024// 000000006F78: E05C1400 8086B426
	v_mfma_i32_16x16x32_i8 v[160:163], a[74:75], v[194:195], v[160:163]// 000000006F80: D3D700A0 0E83854A
	v_mfma_i32_16x16x32_i8 v[160:163], a[76:77], v[196:197], v[160:163]// 000000006F88: D3D700A0 0E83894C
	v_mfma_i32_16x16x32_i8 v[160:163], a[78:79], v[198:199], v[160:163]// 000000006F90: D3D700A0 0E838D4E
	v_mfma_i32_16x16x32_i8 v[164:167], a[64:65], v[200:201], v[164:167]// 000000006F98: D3D700A4 0E939140
	buffer_load_dwordx4 a[184:187], v38, s[24:27], 0 offen offset:2048// 000000006FA0: E05C1800 8086B826
	v_mfma_i32_16x16x32_i8 v[164:167], a[66:67], v[202:203], v[164:167]// 000000006FA8: D3D700A4 0E939542
	v_mfma_i32_16x16x32_i8 v[164:167], a[68:69], v[204:205], v[164:167]// 000000006FB0: D3D700A4 0E939944
	v_mfma_i32_16x16x32_i8 v[164:167], a[70:71], v[206:207], v[164:167]// 000000006FB8: D3D700A4 0E939D46
	v_mfma_i32_16x16x32_i8 v[164:167], a[72:73], v[208:209], v[164:167]// 000000006FC0: D3D700A4 0E93A148
	buffer_load_dwordx4 a[188:191], v38, s[24:27], 0 offen offset:3072// 000000006FC8: E05C1C00 8086BC26
	v_mfma_i32_16x16x32_i8 v[164:167], a[74:75], v[210:211], v[164:167]// 000000006FD0: D3D700A4 0E93A54A
	v_mfma_i32_16x16x32_i8 v[164:167], a[76:77], v[212:213], v[164:167]// 000000006FD8: D3D700A4 0E93A94C
	v_mfma_i32_16x16x32_i8 v[164:167], a[78:79], v[214:215], v[164:167]// 000000006FE0: D3D700A4 0E93AD4E
	s_waitcnt vmcnt(32)                                        // 000000006FE8: BF8C8F70
	v_mfma_i32_16x16x32_i8 v[168:171], a[80:81], v[184:185], v[168:171]// 000000006FEC: D3D700A8 0EA37150
	buffer_load_dwordx4 a[192:195], v39, s[24:27], 0 offen     // 000000006FF4: E05C1000 8086C027
	v_mfma_i32_16x16x32_i8 v[168:171], a[82:83], v[186:187], v[168:171]// 000000006FFC: D3D700A8 0EA37552
	v_mfma_i32_16x16x32_i8 v[168:171], a[84:85], v[188:189], v[168:171]// 000000007004: D3D700A8 0EA37954
	v_mfma_i32_16x16x32_i8 v[168:171], a[86:87], v[190:191], v[168:171]// 00000000700C: D3D700A8 0EA37D56
	v_mfma_i32_16x16x32_i8 v[168:171], a[88:89], v[192:193], v[168:171]// 000000007014: D3D700A8 0EA38158
	buffer_load_dwordx4 a[196:199], v39, s[24:27], 0 offen offset:1024// 00000000701C: E05C1400 8086C427
	v_mfma_i32_16x16x32_i8 v[168:171], a[90:91], v[194:195], v[168:171]// 000000007024: D3D700A8 0EA3855A
	v_mfma_i32_16x16x32_i8 v[168:171], a[92:93], v[196:197], v[168:171]// 00000000702C: D3D700A8 0EA3895C
	v_mfma_i32_16x16x32_i8 v[168:171], a[94:95], v[198:199], v[168:171]// 000000007034: D3D700A8 0EA38D5E
	v_mfma_i32_16x16x32_i8 v[172:175], a[80:81], v[200:201], v[172:175]// 00000000703C: D3D700AC 0EB39150
	buffer_load_dwordx4 a[200:203], v39, s[24:27], 0 offen offset:2048// 000000007044: E05C1800 8086C827
	v_mfma_i32_16x16x32_i8 v[172:175], a[82:83], v[202:203], v[172:175]// 00000000704C: D3D700AC 0EB39552
	v_mfma_i32_16x16x32_i8 v[172:175], a[84:85], v[204:205], v[172:175]// 000000007054: D3D700AC 0EB39954
	v_mfma_i32_16x16x32_i8 v[172:175], a[86:87], v[206:207], v[172:175]// 00000000705C: D3D700AC 0EB39D56
	v_mfma_i32_16x16x32_i8 v[172:175], a[88:89], v[208:209], v[172:175]// 000000007064: D3D700AC 0EB3A158
	buffer_load_dwordx4 a[204:207], v39, s[24:27], 0 offen offset:3072// 00000000706C: E05C1C00 8086CC27
	v_mfma_i32_16x16x32_i8 v[172:175], a[90:91], v[210:211], v[172:175]// 000000007074: D3D700AC 0EB3A55A
	v_mfma_i32_16x16x32_i8 v[172:175], a[92:93], v[212:213], v[172:175]// 00000000707C: D3D700AC 0EB3A95C
	v_mfma_i32_16x16x32_i8 v[172:175], a[94:95], v[214:215], v[172:175]// 000000007084: D3D700AC 0EB3AD5E
	s_waitcnt vmcnt(32)                                        // 00000000708C: BF8C8F70
	v_mfma_i32_16x16x32_i8 v[176:179], a[96:97], v[184:185], v[176:179]// 000000007090: D3D700B0 0EC37160
	buffer_load_dwordx4 a[208:211], v40, s[24:27], 0 offen     // 000000007098: E05C1000 8086D028
	v_mfma_i32_16x16x32_i8 v[176:179], a[98:99], v[186:187], v[176:179]// 0000000070A0: D3D700B0 0EC37562
	v_mfma_i32_16x16x32_i8 v[176:179], a[100:101], v[188:189], v[176:179]// 0000000070A8: D3D700B0 0EC37964
	v_mfma_i32_16x16x32_i8 v[176:179], a[102:103], v[190:191], v[176:179]// 0000000070B0: D3D700B0 0EC37D66
	v_mfma_i32_16x16x32_i8 v[176:179], a[104:105], v[192:193], v[176:179]// 0000000070B8: D3D700B0 0EC38168
	buffer_load_dwordx4 a[212:215], v40, s[24:27], 0 offen offset:1024// 0000000070C0: E05C1400 8086D428
	v_mfma_i32_16x16x32_i8 v[176:179], a[106:107], v[194:195], v[176:179]// 0000000070C8: D3D700B0 0EC3856A
	v_mfma_i32_16x16x32_i8 v[176:179], a[108:109], v[196:197], v[176:179]// 0000000070D0: D3D700B0 0EC3896C
	v_mfma_i32_16x16x32_i8 v[176:179], a[110:111], v[198:199], v[176:179]// 0000000070D8: D3D700B0 0EC38D6E
	v_mfma_i32_16x16x32_i8 v[180:183], a[96:97], v[200:201], v[180:183]// 0000000070E0: D3D700B4 0ED39160
	buffer_load_dwordx4 a[216:219], v40, s[24:27], 0 offen offset:2048// 0000000070E8: E05C1800 8086D828
	v_mfma_i32_16x16x32_i8 v[180:183], a[98:99], v[202:203], v[180:183]// 0000000070F0: D3D700B4 0ED39562
	v_mfma_i32_16x16x32_i8 v[180:183], a[100:101], v[204:205], v[180:183]// 0000000070F8: D3D700B4 0ED39964
	v_mfma_i32_16x16x32_i8 v[180:183], a[102:103], v[206:207], v[180:183]// 000000007100: D3D700B4 0ED39D66
	v_mfma_i32_16x16x32_i8 v[180:183], a[104:105], v[208:209], v[180:183]// 000000007108: D3D700B4 0ED3A168
	buffer_load_dwordx4 a[220:223], v40, s[24:27], 0 offen offset:3072// 000000007110: E05C1C00 8086DC28
	v_mfma_i32_16x16x32_i8 v[180:183], a[106:107], v[210:211], v[180:183]// 000000007118: D3D700B4 0ED3A56A
	v_mfma_i32_16x16x32_i8 v[180:183], a[108:109], v[212:213], v[180:183]// 000000007120: D3D700B4 0ED3A96C
	v_mfma_i32_16x16x32_i8 v[180:183], a[110:111], v[214:215], v[180:183]// 000000007128: D3D700B4 0ED3AD6E
	s_add_u32 s60, 0x300, s80                                  // 000000007130: 803C50FF 00000300
	s_cmp_lt_u32 s60, s81                                      // 000000007138: BF0A513C
	s_cselect_b32 s57, s57, 0                                  // 00000000713C: 85398039
	s_add_u32 s60, 0x200, s80                                  // 000000007140: 803C50FF 00000200
	s_cmp_lt_u32 s60, s81                                      // 000000007148: BF0A513C
	s_cselect_b32 s58, s58, 0                                  // 00000000714C: 853A803A
	s_add_u32 s20, s57, s20                                    // 000000007150: 80141439
	s_addc_u32 s21, 0, s21                                     // 000000007154: 82151580
	s_add_u32 s24, s58, s24                                    // 000000007158: 8018183A
	s_addc_u32 s25, 0, s25                                     // 00000000715C: 82191980
	s_addk_i32 s80, 0x100                                      // 000000007160: B7500100
	s_cmp_lt_i32 s80, s81                                      // 000000007164: BF045150
	s_cbranch_scc0 label_1239                                  // 000000007168: BF84015E
	s_waitcnt vmcnt(20) lgkmcnt(0)                             // 00000000716C: BF8C4074
	s_barrier                                                  // 000000007170: BF8A0000
	v_mfma_i32_16x16x32_i8 v[128:131], a[112:113], v[216:217], v[128:131]// 000000007174: D3D70080 0E03B170
	buffer_load_dwordx4 a[0:3], v34, s[24:27], 0 offen         // 00000000717C: E05C1000 80860022
	v_mfma_i32_16x16x32_i8 v[128:131], a[114:115], v[218:219], v[128:131]// 000000007184: D3D70080 0E03B572
	v_mfma_i32_16x16x32_i8 v[128:131], a[116:117], v[220:221], v[128:131]// 00000000718C: D3D70080 0E03B974
	buffer_load_dword v26, s[20:23], 0 offen lds               // 000000007194: E0511000 8005001A
	s_add_u32 m0, 0x100, s51                                   // 00000000719C: 807C33FF 00000100
	v_mfma_i32_16x16x32_i8 v[128:131], a[118:119], v[222:223], v[128:131]// 0000000071A4: D3D70080 0E03BD76
	v_mfma_i32_16x16x32_i8 v[128:131], a[120:121], v[224:225], v[128:131]// 0000000071AC: D3D70080 0E03C178
	buffer_load_dwordx4 a[4:7], v34, s[24:27], 0 offen offset:1024// 0000000071B4: E05C1400 80860422
	v_mfma_i32_16x16x32_i8 v[128:131], a[122:123], v[226:227], v[128:131]// 0000000071BC: D3D70080 0E03C57A
	v_mfma_i32_16x16x32_i8 v[128:131], a[124:125], v[228:229], v[128:131]// 0000000071C4: D3D70080 0E03C97C
	buffer_load_dword v27, s[20:23], 0 offen lds               // 0000000071CC: E0511000 8005001B
	s_add_u32 m0, 0x200, s51                                   // 0000000071D4: 807C33FF 00000200
	v_mfma_i32_16x16x32_i8 v[128:131], a[126:127], v[230:231], v[128:131]// 0000000071DC: D3D70080 0E03CD7E
	v_mfma_i32_16x16x32_i8 v[132:135], a[112:113], v[232:233], v[132:135]// 0000000071E4: D3D70084 0E13D170
	buffer_load_dwordx4 a[8:11], v34, s[24:27], 0 offen offset:2048// 0000000071EC: E05C1800 80860822
	v_mfma_i32_16x16x32_i8 v[132:135], a[114:115], v[234:235], v[132:135]// 0000000071F4: D3D70084 0E13D572
	v_mfma_i32_16x16x32_i8 v[132:135], a[116:117], v[236:237], v[132:135]// 0000000071FC: D3D70084 0E13D974
	buffer_load_dword v28, s[20:23], 0 offen lds               // 000000007204: E0511000 8005001C
	s_add_u32 m0, 0x300, s51                                   // 00000000720C: 807C33FF 00000300
	v_mfma_i32_16x16x32_i8 v[132:135], a[118:119], v[238:239], v[132:135]// 000000007214: D3D70084 0E13DD76
	v_mfma_i32_16x16x32_i8 v[132:135], a[120:121], v[240:241], v[132:135]// 00000000721C: D3D70084 0E13E178
	buffer_load_dwordx4 a[12:15], v34, s[24:27], 0 offen offset:3072// 000000007224: E05C1C00 80860C22
	v_mfma_i32_16x16x32_i8 v[132:135], a[122:123], v[242:243], v[132:135]// 00000000722C: D3D70084 0E13E57A
	v_mfma_i32_16x16x32_i8 v[132:135], a[124:125], v[244:245], v[132:135]// 000000007234: D3D70084 0E13E97C
	buffer_load_dword v29, s[20:23], 0 offen lds               // 00000000723C: E0511000 8005001D
	s_add_u32 m0, 0x400, s51                                   // 000000007244: 807C33FF 00000400
	v_mfma_i32_16x16x32_i8 v[132:135], a[126:127], v[246:247], v[132:135]// 00000000724C: D3D70084 0E13ED7E
	v_mfma_i32_16x16x32_i8 v[136:139], a[128:129], v[216:217], v[136:139]// 000000007254: D3D70088 0E23B180
	buffer_load_dwordx4 a[16:19], v35, s[24:27], 0 offen       // 00000000725C: E05C1000 80861023
	v_mfma_i32_16x16x32_i8 v[136:139], a[130:131], v[218:219], v[136:139]// 000000007264: D3D70088 0E23B582
	v_mfma_i32_16x16x32_i8 v[136:139], a[132:133], v[220:221], v[136:139]// 00000000726C: D3D70088 0E23B984
	buffer_load_dword v30, s[20:23], 0 offen lds               // 000000007274: E0511000 8005001E
	s_add_u32 m0, 0x500, s51                                   // 00000000727C: 807C33FF 00000500
	v_mfma_i32_16x16x32_i8 v[136:139], a[134:135], v[222:223], v[136:139]// 000000007284: D3D70088 0E23BD86
	v_mfma_i32_16x16x32_i8 v[136:139], a[136:137], v[224:225], v[136:139]// 00000000728C: D3D70088 0E23C188
	buffer_load_dwordx4 a[20:23], v35, s[24:27], 0 offen offset:1024// 000000007294: E05C1400 80861423
	v_mfma_i32_16x16x32_i8 v[136:139], a[138:139], v[226:227], v[136:139]// 00000000729C: D3D70088 0E23C58A
	v_mfma_i32_16x16x32_i8 v[136:139], a[140:141], v[228:229], v[136:139]// 0000000072A4: D3D70088 0E23C98C
	buffer_load_dword v31, s[20:23], 0 offen lds               // 0000000072AC: E0511000 8005001F
	s_add_u32 m0, 0x600, s51                                   // 0000000072B4: 807C33FF 00000600
	v_mfma_i32_16x16x32_i8 v[136:139], a[142:143], v[230:231], v[136:139]// 0000000072BC: D3D70088 0E23CD8E
	v_mfma_i32_16x16x32_i8 v[140:143], a[128:129], v[232:233], v[140:143]// 0000000072C4: D3D7008C 0E33D180
	buffer_load_dwordx4 a[24:27], v35, s[24:27], 0 offen offset:2048// 0000000072CC: E05C1800 80861823
	v_mfma_i32_16x16x32_i8 v[140:143], a[130:131], v[234:235], v[140:143]// 0000000072D4: D3D7008C 0E33D582
	v_mfma_i32_16x16x32_i8 v[140:143], a[132:133], v[236:237], v[140:143]// 0000000072DC: D3D7008C 0E33D984
	buffer_load_dword v32, s[20:23], 0 offen lds               // 0000000072E4: E0511000 80050020
	s_add_u32 m0, 0x700, s51                                   // 0000000072EC: 807C33FF 00000700
	v_mfma_i32_16x16x32_i8 v[140:143], a[134:135], v[238:239], v[140:143]// 0000000072F4: D3D7008C 0E33DD86
	v_mfma_i32_16x16x32_i8 v[140:143], a[136:137], v[240:241], v[140:143]// 0000000072FC: D3D7008C 0E33E188
	buffer_load_dwordx4 a[28:31], v35, s[24:27], 0 offen offset:3072// 000000007304: E05C1C00 80861C23
	v_mfma_i32_16x16x32_i8 v[140:143], a[138:139], v[242:243], v[140:143]// 00000000730C: D3D7008C 0E33E58A
	v_mfma_i32_16x16x32_i8 v[140:143], a[140:141], v[244:245], v[140:143]// 000000007314: D3D7008C 0E33E98C
	buffer_load_dword v33, s[20:23], 0 offen lds               // 00000000731C: E0511000 80050021
	s_add_u32 m0, 0, s50                                       // 000000007324: 807C3280
	v_mfma_i32_16x16x32_i8 v[140:143], a[142:143], v[246:247], v[140:143]// 000000007328: D3D7008C 0E33ED8E
	s_waitcnt vmcnt(32)                                        // 000000007330: BF8C8F70
	v_mfma_i32_16x16x32_i8 v[144:147], a[144:145], v[216:217], v[144:147]// 000000007334: D3D70090 0E43B190
	buffer_load_dwordx4 a[32:35], v36, s[24:27], 0 offen       // 00000000733C: E05C1000 80862024
	v_mfma_i32_16x16x32_i8 v[144:147], a[146:147], v[218:219], v[144:147]// 000000007344: D3D70090 0E43B592
	v_mfma_i32_16x16x32_i8 v[144:147], a[148:149], v[220:221], v[144:147]// 00000000734C: D3D70090 0E43B994
	ds_read_b128 v[184:187], v2                                // 000000007354: D9FE0000 B8000002
	v_mfma_i32_16x16x32_i8 v[144:147], a[150:151], v[222:223], v[144:147]// 00000000735C: D3D70090 0E43BD96
	v_mfma_i32_16x16x32_i8 v[144:147], a[152:153], v[224:225], v[144:147]// 000000007364: D3D70090 0E43C198
	buffer_load_dwordx4 a[36:39], v36, s[24:27], 0 offen offset:1024// 00000000736C: E05C1400 80862424
	v_mfma_i32_16x16x32_i8 v[144:147], a[154:155], v[226:227], v[144:147]// 000000007374: D3D70090 0E43C59A
	v_mfma_i32_16x16x32_i8 v[144:147], a[156:157], v[228:229], v[144:147]// 00000000737C: D3D70090 0E43C99C
	ds_read_b128 v[188:191], v2 offset:64                      // 000000007384: D9FE0040 BC000002
	v_mfma_i32_16x16x32_i8 v[144:147], a[158:159], v[230:231], v[144:147]// 00000000738C: D3D70090 0E43CD9E
	v_mfma_i32_16x16x32_i8 v[148:151], a[144:145], v[232:233], v[148:151]// 000000007394: D3D70094 0E53D190
	buffer_load_dwordx4 a[40:43], v36, s[24:27], 0 offen offset:2048// 00000000739C: E05C1800 80862824
	v_mfma_i32_16x16x32_i8 v[148:151], a[146:147], v[234:235], v[148:151]// 0000000073A4: D3D70094 0E53D592
	v_mfma_i32_16x16x32_i8 v[148:151], a[148:149], v[236:237], v[148:151]// 0000000073AC: D3D70094 0E53D994
	ds_read_b128 v[192:195], v2 offset:128                     // 0000000073B4: D9FE0080 C0000002
	v_mfma_i32_16x16x32_i8 v[148:151], a[150:151], v[238:239], v[148:151]// 0000000073BC: D3D70094 0E53DD96
	v_mfma_i32_16x16x32_i8 v[148:151], a[152:153], v[240:241], v[148:151]// 0000000073C4: D3D70094 0E53E198
	buffer_load_dwordx4 a[44:47], v36, s[24:27], 0 offen offset:3072// 0000000073CC: E05C1C00 80862C24
	v_mfma_i32_16x16x32_i8 v[148:151], a[154:155], v[242:243], v[148:151]// 0000000073D4: D3D70094 0E53E59A
	v_mfma_i32_16x16x32_i8 v[148:151], a[156:157], v[244:245], v[148:151]// 0000000073DC: D3D70094 0E53E99C
	ds_read_b128 v[196:199], v2 offset:192                     // 0000000073E4: D9FE00C0 C4000002
	v_mfma_i32_16x16x32_i8 v[148:151], a[158:159], v[246:247], v[148:151]// 0000000073EC: D3D70094 0E53ED9E
	s_waitcnt vmcnt(32)                                        // 0000000073F4: BF8C8F70
	v_mfma_i32_16x16x32_i8 v[152:155], a[160:161], v[216:217], v[152:155]// 0000000073F8: D3D70098 0E63B1A0
	buffer_load_dwordx4 a[48:51], v37, s[24:27], 0 offen       // 000000007400: E05C1000 80863025
	v_mfma_i32_16x16x32_i8 v[152:155], a[162:163], v[218:219], v[152:155]// 000000007408: D3D70098 0E63B5A2
	v_mfma_i32_16x16x32_i8 v[152:155], a[164:165], v[220:221], v[152:155]// 000000007410: D3D70098 0E63B9A4
	ds_read_b128 v[200:203], v2 offset:1024                    // 000000007418: D9FE0400 C8000002
	v_mfma_i32_16x16x32_i8 v[152:155], a[166:167], v[222:223], v[152:155]// 000000007420: D3D70098 0E63BDA6
	v_mfma_i32_16x16x32_i8 v[152:155], a[168:169], v[224:225], v[152:155]// 000000007428: D3D70098 0E63C1A8
	buffer_load_dwordx4 a[52:55], v37, s[24:27], 0 offen offset:1024// 000000007430: E05C1400 80863425
	v_mfma_i32_16x16x32_i8 v[152:155], a[170:171], v[226:227], v[152:155]// 000000007438: D3D70098 0E63C5AA
	v_mfma_i32_16x16x32_i8 v[152:155], a[172:173], v[228:229], v[152:155]// 000000007440: D3D70098 0E63C9AC
	ds_read_b128 v[204:207], v2 offset:1088                    // 000000007448: D9FE0440 CC000002
	v_mfma_i32_16x16x32_i8 v[152:155], a[174:175], v[230:231], v[152:155]// 000000007450: D3D70098 0E63CDAE
	v_mfma_i32_16x16x32_i8 v[156:159], a[160:161], v[232:233], v[156:159]// 000000007458: D3D7009C 0E73D1A0
	buffer_load_dwordx4 a[56:59], v37, s[24:27], 0 offen offset:2048// 000000007460: E05C1800 80863825
	v_mfma_i32_16x16x32_i8 v[156:159], a[162:163], v[234:235], v[156:159]// 000000007468: D3D7009C 0E73D5A2
	v_mfma_i32_16x16x32_i8 v[156:159], a[164:165], v[236:237], v[156:159]// 000000007470: D3D7009C 0E73D9A4
	ds_read_b128 v[208:211], v2 offset:1152                    // 000000007478: D9FE0480 D0000002
	v_mfma_i32_16x16x32_i8 v[156:159], a[166:167], v[238:239], v[156:159]// 000000007480: D3D7009C 0E73DDA6
	v_mfma_i32_16x16x32_i8 v[156:159], a[168:169], v[240:241], v[156:159]// 000000007488: D3D7009C 0E73E1A8
	buffer_load_dwordx4 a[60:63], v37, s[24:27], 0 offen offset:3072// 000000007490: E05C1C00 80863C25
	v_mfma_i32_16x16x32_i8 v[156:159], a[170:171], v[242:243], v[156:159]// 000000007498: D3D7009C 0E73E5AA
	v_mfma_i32_16x16x32_i8 v[156:159], a[172:173], v[244:245], v[156:159]// 0000000074A0: D3D7009C 0E73E9AC
	ds_read_b128 v[212:215], v2 offset:1216                    // 0000000074A8: D9FE04C0 D4000002
	v_mfma_i32_16x16x32_i8 v[156:159], a[174:175], v[246:247], v[156:159]// 0000000074B0: D3D7009C 0E73EDAE
	s_waitcnt vmcnt(32)                                        // 0000000074B8: BF8C8F70
	v_mfma_i32_16x16x32_i8 v[160:163], a[176:177], v[216:217], v[160:163]// 0000000074BC: D3D700A0 0E83B1B0
	buffer_load_dwordx4 a[64:67], v38, s[24:27], 0 offen       // 0000000074C4: E05C1000 80864026
	v_mfma_i32_16x16x32_i8 v[160:163], a[178:179], v[218:219], v[160:163]// 0000000074CC: D3D700A0 0E83B5B2
	v_mfma_i32_16x16x32_i8 v[160:163], a[180:181], v[220:221], v[160:163]// 0000000074D4: D3D700A0 0E83B9B4
	v_mfma_i32_16x16x32_i8 v[160:163], a[182:183], v[222:223], v[160:163]// 0000000074DC: D3D700A0 0E83BDB6
	v_mfma_i32_16x16x32_i8 v[160:163], a[184:185], v[224:225], v[160:163]// 0000000074E4: D3D700A0 0E83C1B8
	buffer_load_dwordx4 a[68:71], v38, s[24:27], 0 offen offset:1024// 0000000074EC: E05C1400 80864426
	v_mfma_i32_16x16x32_i8 v[160:163], a[186:187], v[226:227], v[160:163]// 0000000074F4: D3D700A0 0E83C5BA
	v_mfma_i32_16x16x32_i8 v[160:163], a[188:189], v[228:229], v[160:163]// 0000000074FC: D3D700A0 0E83C9BC
	v_mfma_i32_16x16x32_i8 v[160:163], a[190:191], v[230:231], v[160:163]// 000000007504: D3D700A0 0E83CDBE
	v_mfma_i32_16x16x32_i8 v[164:167], a[176:177], v[232:233], v[164:167]// 00000000750C: D3D700A4 0E93D1B0
	buffer_load_dwordx4 a[72:75], v38, s[24:27], 0 offen offset:2048// 000000007514: E05C1800 80864826
	v_mfma_i32_16x16x32_i8 v[164:167], a[178:179], v[234:235], v[164:167]// 00000000751C: D3D700A4 0E93D5B2
	v_mfma_i32_16x16x32_i8 v[164:167], a[180:181], v[236:237], v[164:167]// 000000007524: D3D700A4 0E93D9B4
	v_mfma_i32_16x16x32_i8 v[164:167], a[182:183], v[238:239], v[164:167]// 00000000752C: D3D700A4 0E93DDB6
	v_mfma_i32_16x16x32_i8 v[164:167], a[184:185], v[240:241], v[164:167]// 000000007534: D3D700A4 0E93E1B8
	buffer_load_dwordx4 a[76:79], v38, s[24:27], 0 offen offset:3072// 00000000753C: E05C1C00 80864C26
	v_mfma_i32_16x16x32_i8 v[164:167], a[186:187], v[242:243], v[164:167]// 000000007544: D3D700A4 0E93E5BA
	v_mfma_i32_16x16x32_i8 v[164:167], a[188:189], v[244:245], v[164:167]// 00000000754C: D3D700A4 0E93E9BC
	v_mfma_i32_16x16x32_i8 v[164:167], a[190:191], v[246:247], v[164:167]// 000000007554: D3D700A4 0E93EDBE
	s_waitcnt vmcnt(32)                                        // 00000000755C: BF8C8F70
	v_mfma_i32_16x16x32_i8 v[168:171], a[192:193], v[216:217], v[168:171]// 000000007560: D3D700A8 0EA3B1C0
	buffer_load_dwordx4 a[80:83], v39, s[24:27], 0 offen       // 000000007568: E05C1000 80865027
	v_mfma_i32_16x16x32_i8 v[168:171], a[194:195], v[218:219], v[168:171]// 000000007570: D3D700A8 0EA3B5C2
	v_mfma_i32_16x16x32_i8 v[168:171], a[196:197], v[220:221], v[168:171]// 000000007578: D3D700A8 0EA3B9C4
	v_mfma_i32_16x16x32_i8 v[168:171], a[198:199], v[222:223], v[168:171]// 000000007580: D3D700A8 0EA3BDC6
	v_mfma_i32_16x16x32_i8 v[168:171], a[200:201], v[224:225], v[168:171]// 000000007588: D3D700A8 0EA3C1C8
	buffer_load_dwordx4 a[84:87], v39, s[24:27], 0 offen offset:1024// 000000007590: E05C1400 80865427
	v_mfma_i32_16x16x32_i8 v[168:171], a[202:203], v[226:227], v[168:171]// 000000007598: D3D700A8 0EA3C5CA
	v_mfma_i32_16x16x32_i8 v[168:171], a[204:205], v[228:229], v[168:171]// 0000000075A0: D3D700A8 0EA3C9CC
	v_mfma_i32_16x16x32_i8 v[168:171], a[206:207], v[230:231], v[168:171]// 0000000075A8: D3D700A8 0EA3CDCE
	v_mfma_i32_16x16x32_i8 v[172:175], a[192:193], v[232:233], v[172:175]// 0000000075B0: D3D700AC 0EB3D1C0
	buffer_load_dwordx4 a[88:91], v39, s[24:27], 0 offen offset:2048// 0000000075B8: E05C1800 80865827
	v_mfma_i32_16x16x32_i8 v[172:175], a[194:195], v[234:235], v[172:175]// 0000000075C0: D3D700AC 0EB3D5C2
	v_mfma_i32_16x16x32_i8 v[172:175], a[196:197], v[236:237], v[172:175]// 0000000075C8: D3D700AC 0EB3D9C4
	v_mfma_i32_16x16x32_i8 v[172:175], a[198:199], v[238:239], v[172:175]// 0000000075D0: D3D700AC 0EB3DDC6
	v_mfma_i32_16x16x32_i8 v[172:175], a[200:201], v[240:241], v[172:175]// 0000000075D8: D3D700AC 0EB3E1C8
	buffer_load_dwordx4 a[92:95], v39, s[24:27], 0 offen offset:3072// 0000000075E0: E05C1C00 80865C27
	v_mfma_i32_16x16x32_i8 v[172:175], a[202:203], v[242:243], v[172:175]// 0000000075E8: D3D700AC 0EB3E5CA
	v_mfma_i32_16x16x32_i8 v[172:175], a[204:205], v[244:245], v[172:175]// 0000000075F0: D3D700AC 0EB3E9CC
	v_mfma_i32_16x16x32_i8 v[172:175], a[206:207], v[246:247], v[172:175]// 0000000075F8: D3D700AC 0EB3EDCE
	s_waitcnt vmcnt(32)                                        // 000000007600: BF8C8F70
	v_mfma_i32_16x16x32_i8 v[176:179], a[208:209], v[216:217], v[176:179]// 000000007604: D3D700B0 0EC3B1D0
	buffer_load_dwordx4 a[96:99], v40, s[24:27], 0 offen       // 00000000760C: E05C1000 80866028
	v_mfma_i32_16x16x32_i8 v[176:179], a[210:211], v[218:219], v[176:179]// 000000007614: D3D700B0 0EC3B5D2
	v_mfma_i32_16x16x32_i8 v[176:179], a[212:213], v[220:221], v[176:179]// 00000000761C: D3D700B0 0EC3B9D4
	v_mfma_i32_16x16x32_i8 v[176:179], a[214:215], v[222:223], v[176:179]// 000000007624: D3D700B0 0EC3BDD6
	v_mfma_i32_16x16x32_i8 v[176:179], a[216:217], v[224:225], v[176:179]// 00000000762C: D3D700B0 0EC3C1D8
	buffer_load_dwordx4 a[100:103], v40, s[24:27], 0 offen offset:1024// 000000007634: E05C1400 80866428
	v_mfma_i32_16x16x32_i8 v[176:179], a[218:219], v[226:227], v[176:179]// 00000000763C: D3D700B0 0EC3C5DA
	v_mfma_i32_16x16x32_i8 v[176:179], a[220:221], v[228:229], v[176:179]// 000000007644: D3D700B0 0EC3C9DC
	v_mfma_i32_16x16x32_i8 v[176:179], a[222:223], v[230:231], v[176:179]// 00000000764C: D3D700B0 0EC3CDDE
	v_mfma_i32_16x16x32_i8 v[180:183], a[208:209], v[232:233], v[180:183]// 000000007654: D3D700B4 0ED3D1D0
	buffer_load_dwordx4 a[104:107], v40, s[24:27], 0 offen offset:2048// 00000000765C: E05C1800 80866828
	v_mfma_i32_16x16x32_i8 v[180:183], a[210:211], v[234:235], v[180:183]// 000000007664: D3D700B4 0ED3D5D2
	v_mfma_i32_16x16x32_i8 v[180:183], a[212:213], v[236:237], v[180:183]// 00000000766C: D3D700B4 0ED3D9D4
	v_mfma_i32_16x16x32_i8 v[180:183], a[214:215], v[238:239], v[180:183]// 000000007674: D3D700B4 0ED3DDD6
	v_mfma_i32_16x16x32_i8 v[180:183], a[216:217], v[240:241], v[180:183]// 00000000767C: D3D700B4 0ED3E1D8
	buffer_load_dwordx4 a[108:111], v40, s[24:27], 0 offen offset:3072// 000000007684: E05C1C00 80866C28
	v_mfma_i32_16x16x32_i8 v[180:183], a[218:219], v[242:243], v[180:183]// 00000000768C: D3D700B4 0ED3E5DA
	v_mfma_i32_16x16x32_i8 v[180:183], a[220:221], v[244:245], v[180:183]// 000000007694: D3D700B4 0ED3E9DC
	v_mfma_i32_16x16x32_i8 v[180:183], a[222:223], v[246:247], v[180:183]// 00000000769C: D3D700B4 0ED3EDDE
	s_add_u32 s60, 0x300, s80                                  // 0000000076A4: 803C50FF 00000300
	s_cmp_lt_u32 s60, s81                                      // 0000000076AC: BF0A513C
	s_cselect_b32 s57, s57, 0                                  // 0000000076B0: 85398039
	s_add_u32 s60, 0x200, s80                                  // 0000000076B4: 803C50FF 00000200
	s_cmp_lt_u32 s60, s81                                      // 0000000076BC: BF0A513C
	s_cselect_b32 s58, s58, 0                                  // 0000000076C0: 853A803A
	s_add_u32 s20, s57, s20                                    // 0000000076C4: 80141439
	s_addc_u32 s21, 0, s21                                     // 0000000076C8: 82151580
	s_add_u32 s24, s58, s24                                    // 0000000076CC: 8018183A
	s_addc_u32 s25, 0, s25                                     // 0000000076D0: 82191980
	s_addk_i32 s80, 0x100                                      // 0000000076D4: B7500100
	s_cmp_lt_i32 s80, s81                                      // 0000000076D8: BF045150
	s_cbranch_scc0 label_1239                                  // 0000000076DC: BF840001
	s_branch label_0F7E                                        // 0000000076E0: BF82FD45

00000000000076e4 <label_1239>:
	s_mov_b32 s36, -1                                          // 0000000076E4: BEA400C1
	s_mov_b32 s37, -1                                          // 0000000076E8: BEA500C1
	s_mov_b64 s[60:61], 0                                      // 0000000076EC: BEBC0180
	s_cmp_lt_u32 s82, s66                                      // 0000000076F0: BF0A4252
	s_cselect_b64 s[20:21], s[36:37], s[60:61]                 // 0000000076F4: 85943C24
	s_cmp_lt_u32 s83, s66                                      // 0000000076F8: BF0A4253
	s_cselect_b64 s[22:23], s[36:37], s[60:61]                 // 0000000076FC: 85963C24
	s_cmp_lt_u32 s84, s66                                      // 000000007700: BF0A4254
	s_cselect_b64 s[24:25], s[36:37], s[60:61]                 // 000000007704: 85983C24
	s_cmp_lt_u32 s85, s66                                      // 000000007708: BF0A4255
	s_cselect_b64 s[26:27], s[36:37], s[60:61]                 // 00000000770C: 859A3C24
	s_cmp_lt_u32 s86, s66                                      // 000000007710: BF0A4256
	s_cselect_b64 s[28:29], s[36:37], s[60:61]                 // 000000007714: 859C3C24
	s_cmp_lt_u32 s87, s66                                      // 000000007718: BF0A4257
	s_cselect_b64 s[30:31], s[36:37], s[60:61]                 // 00000000771C: 859E3C24
	s_cmp_lt_u32 s88, s66                                      // 000000007720: BF0A4258
	s_cselect_b64 s[32:33], s[36:37], s[60:61]                 // 000000007724: 85A03C24
	s_cmp_lt_u32 s89, s66                                      // 000000007728: BF0A4259
	s_cselect_b64 s[34:35], s[36:37], s[60:61]                 // 00000000772C: 85A23C24
	v_cvt_f32_i32_e32 v128, v128                               // 000000007730: 7F000B80
	v_cvt_f32_i32_e32 v129, v129                               // 000000007734: 7F020B81
	v_cvt_f32_i32_e32 v130, v130                               // 000000007738: 7F040B82
	v_cvt_f32_i32_e32 v131, v131                               // 00000000773C: 7F060B83
	v_mul_f32_e32 v128, v14, v128                              // 000000007740: 0B01010E
	v_mul_f32_e32 v129, v14, v129                              // 000000007744: 0B03030E
	v_mul_f32_e32 v130, v14, v130                              // 000000007748: 0B05050E
	v_mul_f32_e32 v131, v14, v131                              // 00000000774C: 0B07070E
	v_mul_f32_dpp v128, v16, v128 row_newbcast:0 row_mask:0xf bank_mask:0xf// 000000007750: 0B0100FA FF015010
	v_mul_f32_dpp v129, v16, v129 row_newbcast:1 row_mask:0xf bank_mask:0xf// 000000007758: 0B0302FA FF015110
	v_mul_f32_dpp v130, v16, v130 row_newbcast:2 row_mask:0xf bank_mask:0xf// 000000007760: 0B0504FA FF015210
	v_mul_f32_dpp v131, v16, v131 row_newbcast:3 row_mask:0xf bank_mask:0xf// 000000007768: 0B0706FA FF015310
	v_cvt_f32_i32_e32 v132, v132                               // 000000007770: 7F080B84
	v_cvt_f32_i32_e32 v133, v133                               // 000000007774: 7F0A0B85
	v_cvt_f32_i32_e32 v134, v134                               // 000000007778: 7F0C0B86
	v_cvt_f32_i32_e32 v135, v135                               // 00000000777C: 7F0E0B87
	v_mul_f32_e32 v132, v15, v132                              // 000000007780: 0B09090F
	v_mul_f32_e32 v133, v15, v133                              // 000000007784: 0B0B0B0F
	v_mul_f32_e32 v134, v15, v134                              // 000000007788: 0B0D0D0F
	v_mul_f32_e32 v135, v15, v135                              // 00000000778C: 0B0F0F0F
	v_mul_f32_dpp v132, v16, v132 row_newbcast:0 row_mask:0xf bank_mask:0xf// 000000007790: 0B0908FA FF015010
	v_mul_f32_dpp v133, v16, v133 row_newbcast:1 row_mask:0xf bank_mask:0xf// 000000007798: 0B0B0AFA FF015110
	v_mul_f32_dpp v134, v16, v134 row_newbcast:2 row_mask:0xf bank_mask:0xf// 0000000077A0: 0B0D0CFA FF015210
	v_mul_f32_dpp v135, v16, v135 row_newbcast:3 row_mask:0xf bank_mask:0xf// 0000000077A8: 0B0F0EFA FF015310
	v_cvt_f32_i32_e32 v136, v136                               // 0000000077B0: 7F100B88
	v_cvt_f32_i32_e32 v137, v137                               // 0000000077B4: 7F120B89
	v_cvt_f32_i32_e32 v138, v138                               // 0000000077B8: 7F140B8A
	v_cvt_f32_i32_e32 v139, v139                               // 0000000077BC: 7F160B8B
	v_mul_f32_e32 v136, v14, v136                              // 0000000077C0: 0B11110E
	v_mul_f32_e32 v137, v14, v137                              // 0000000077C4: 0B13130E
	v_mul_f32_e32 v138, v14, v138                              // 0000000077C8: 0B15150E
	v_mul_f32_e32 v139, v14, v139                              // 0000000077CC: 0B17170E
	v_mul_f32_dpp v136, v16, v136 row_newbcast:4 row_mask:0xf bank_mask:0xf// 0000000077D0: 0B1110FA FF015410
	v_mul_f32_dpp v137, v16, v137 row_newbcast:5 row_mask:0xf bank_mask:0xf// 0000000077D8: 0B1312FA FF015510
	v_mul_f32_dpp v138, v16, v138 row_newbcast:6 row_mask:0xf bank_mask:0xf// 0000000077E0: 0B1514FA FF015610
	v_mul_f32_dpp v139, v16, v139 row_newbcast:7 row_mask:0xf bank_mask:0xf// 0000000077E8: 0B1716FA FF015710
	v_cvt_f32_i32_e32 v140, v140                               // 0000000077F0: 7F180B8C
	v_cvt_f32_i32_e32 v141, v141                               // 0000000077F4: 7F1A0B8D
	v_cvt_f32_i32_e32 v142, v142                               // 0000000077F8: 7F1C0B8E
	v_cvt_f32_i32_e32 v143, v143                               // 0000000077FC: 7F1E0B8F
	v_mul_f32_e32 v140, v15, v140                              // 000000007800: 0B19190F
	v_mul_f32_e32 v141, v15, v141                              // 000000007804: 0B1B1B0F
	v_mul_f32_e32 v142, v15, v142                              // 000000007808: 0B1D1D0F
	v_mul_f32_e32 v143, v15, v143                              // 00000000780C: 0B1F1F0F
	v_mul_f32_dpp v140, v16, v140 row_newbcast:4 row_mask:0xf bank_mask:0xf// 000000007810: 0B1918FA FF015410
	v_mul_f32_dpp v141, v16, v141 row_newbcast:5 row_mask:0xf bank_mask:0xf// 000000007818: 0B1B1AFA FF015510
	v_mul_f32_dpp v142, v16, v142 row_newbcast:6 row_mask:0xf bank_mask:0xf// 000000007820: 0B1D1CFA FF015610
	v_mul_f32_dpp v143, v16, v143 row_newbcast:7 row_mask:0xf bank_mask:0xf// 000000007828: 0B1F1EFA FF015710
	v_cvt_f32_i32_e32 v144, v144                               // 000000007830: 7F200B90
	v_cvt_f32_i32_e32 v145, v145                               // 000000007834: 7F220B91
	v_cvt_f32_i32_e32 v146, v146                               // 000000007838: 7F240B92
	v_cvt_f32_i32_e32 v147, v147                               // 00000000783C: 7F260B93
	v_mul_f32_e32 v144, v14, v144                              // 000000007840: 0B21210E
	v_mul_f32_e32 v145, v14, v145                              // 000000007844: 0B23230E
	v_mul_f32_e32 v146, v14, v146                              // 000000007848: 0B25250E
	v_mul_f32_e32 v147, v14, v147                              // 00000000784C: 0B27270E
	v_mul_f32_dpp v144, v16, v144 row_newbcast:8 row_mask:0xf bank_mask:0xf// 000000007850: 0B2120FA FF015810
	v_mul_f32_dpp v145, v16, v145 row_newbcast:9 row_mask:0xf bank_mask:0xf// 000000007858: 0B2322FA FF015910
	v_mul_f32_dpp v146, v16, v146 row_newbcast:10 row_mask:0xf bank_mask:0xf// 000000007860: 0B2524FA FF015A10
	v_mul_f32_dpp v147, v16, v147 row_newbcast:11 row_mask:0xf bank_mask:0xf// 000000007868: 0B2726FA FF015B10
	v_cvt_f32_i32_e32 v148, v148                               // 000000007870: 7F280B94
	v_cvt_f32_i32_e32 v149, v149                               // 000000007874: 7F2A0B95
	v_cvt_f32_i32_e32 v150, v150                               // 000000007878: 7F2C0B96
	v_cvt_f32_i32_e32 v151, v151                               // 00000000787C: 7F2E0B97
	v_mul_f32_e32 v148, v15, v148                              // 000000007880: 0B29290F
	v_mul_f32_e32 v149, v15, v149                              // 000000007884: 0B2B2B0F
	v_mul_f32_e32 v150, v15, v150                              // 000000007888: 0B2D2D0F
	v_mul_f32_e32 v151, v15, v151                              // 00000000788C: 0B2F2F0F
	v_mul_f32_dpp v148, v16, v148 row_newbcast:8 row_mask:0xf bank_mask:0xf// 000000007890: 0B2928FA FF015810
	v_mul_f32_dpp v149, v16, v149 row_newbcast:9 row_mask:0xf bank_mask:0xf// 000000007898: 0B2B2AFA FF015910
	v_mul_f32_dpp v150, v16, v150 row_newbcast:10 row_mask:0xf bank_mask:0xf// 0000000078A0: 0B2D2CFA FF015A10
	v_mul_f32_dpp v151, v16, v151 row_newbcast:11 row_mask:0xf bank_mask:0xf// 0000000078A8: 0B2F2EFA FF015B10
	v_cvt_f32_i32_e32 v152, v152                               // 0000000078B0: 7F300B98
	v_cvt_f32_i32_e32 v153, v153                               // 0000000078B4: 7F320B99
	v_cvt_f32_i32_e32 v154, v154                               // 0000000078B8: 7F340B9A
	v_cvt_f32_i32_e32 v155, v155                               // 0000000078BC: 7F360B9B
	v_mul_f32_e32 v152, v14, v152                              // 0000000078C0: 0B31310E
	v_mul_f32_e32 v153, v14, v153                              // 0000000078C4: 0B33330E
	v_mul_f32_e32 v154, v14, v154                              // 0000000078C8: 0B35350E
	v_mul_f32_e32 v155, v14, v155                              // 0000000078CC: 0B37370E
	v_mul_f32_dpp v152, v16, v152 row_newbcast:12 row_mask:0xf bank_mask:0xf// 0000000078D0: 0B3130FA FF015C10
	v_mul_f32_dpp v153, v16, v153 row_newbcast:13 row_mask:0xf bank_mask:0xf// 0000000078D8: 0B3332FA FF015D10
	v_mul_f32_dpp v154, v16, v154 row_newbcast:14 row_mask:0xf bank_mask:0xf// 0000000078E0: 0B3534FA FF015E10
	v_mul_f32_dpp v155, v16, v155 row_newbcast:15 row_mask:0xf bank_mask:0xf// 0000000078E8: 0B3736FA FF015F10
	v_cvt_f32_i32_e32 v156, v156                               // 0000000078F0: 7F380B9C
	v_cvt_f32_i32_e32 v157, v157                               // 0000000078F4: 7F3A0B9D
	v_cvt_f32_i32_e32 v158, v158                               // 0000000078F8: 7F3C0B9E
	v_cvt_f32_i32_e32 v159, v159                               // 0000000078FC: 7F3E0B9F
	v_mul_f32_e32 v156, v15, v156                              // 000000007900: 0B39390F
	v_mul_f32_e32 v157, v15, v157                              // 000000007904: 0B3B3B0F
	v_mul_f32_e32 v158, v15, v158                              // 000000007908: 0B3D3D0F
	v_mul_f32_e32 v159, v15, v159                              // 00000000790C: 0B3F3F0F
	v_mul_f32_dpp v156, v16, v156 row_newbcast:12 row_mask:0xf bank_mask:0xf// 000000007910: 0B3938FA FF015C10
	v_mul_f32_dpp v157, v16, v157 row_newbcast:13 row_mask:0xf bank_mask:0xf// 000000007918: 0B3B3AFA FF015D10
	v_mul_f32_dpp v158, v16, v158 row_newbcast:14 row_mask:0xf bank_mask:0xf// 000000007920: 0B3D3CFA FF015E10
	v_mul_f32_dpp v159, v16, v159 row_newbcast:15 row_mask:0xf bank_mask:0xf// 000000007928: 0B3F3EFA FF015F10
	v_cvt_f32_i32_e32 v160, v160                               // 000000007930: 7F400BA0
	v_cvt_f32_i32_e32 v161, v161                               // 000000007934: 7F420BA1
	v_cvt_f32_i32_e32 v162, v162                               // 000000007938: 7F440BA2
	v_cvt_f32_i32_e32 v163, v163                               // 00000000793C: 7F460BA3
	v_mul_f32_e32 v160, v14, v160                              // 000000007940: 0B41410E
	v_mul_f32_e32 v161, v14, v161                              // 000000007944: 0B43430E
	v_mul_f32_e32 v162, v14, v162                              // 000000007948: 0B45450E
	v_mul_f32_e32 v163, v14, v163                              // 00000000794C: 0B47470E
	v_mul_f32_dpp v160, v17, v160 row_newbcast:0 row_mask:0xf bank_mask:0xf// 000000007950: 0B4140FA FF015011
	v_mul_f32_dpp v161, v17, v161 row_newbcast:1 row_mask:0xf bank_mask:0xf// 000000007958: 0B4342FA FF015111
	v_mul_f32_dpp v162, v17, v162 row_newbcast:2 row_mask:0xf bank_mask:0xf// 000000007960: 0B4544FA FF015211
	v_mul_f32_dpp v163, v17, v163 row_newbcast:3 row_mask:0xf bank_mask:0xf// 000000007968: 0B4746FA FF015311
	v_cvt_f32_i32_e32 v164, v164                               // 000000007970: 7F480BA4
	v_cvt_f32_i32_e32 v165, v165                               // 000000007974: 7F4A0BA5
	v_cvt_f32_i32_e32 v166, v166                               // 000000007978: 7F4C0BA6
	v_cvt_f32_i32_e32 v167, v167                               // 00000000797C: 7F4E0BA7
	v_mul_f32_e32 v164, v15, v164                              // 000000007980: 0B49490F
	v_mul_f32_e32 v165, v15, v165                              // 000000007984: 0B4B4B0F
	v_mul_f32_e32 v166, v15, v166                              // 000000007988: 0B4D4D0F
	v_mul_f32_e32 v167, v15, v167                              // 00000000798C: 0B4F4F0F
	v_mul_f32_dpp v164, v17, v164 row_newbcast:0 row_mask:0xf bank_mask:0xf// 000000007990: 0B4948FA FF015011
	v_mul_f32_dpp v165, v17, v165 row_newbcast:1 row_mask:0xf bank_mask:0xf// 000000007998: 0B4B4AFA FF015111
	v_mul_f32_dpp v166, v17, v166 row_newbcast:2 row_mask:0xf bank_mask:0xf// 0000000079A0: 0B4D4CFA FF015211
	v_mul_f32_dpp v167, v17, v167 row_newbcast:3 row_mask:0xf bank_mask:0xf// 0000000079A8: 0B4F4EFA FF015311
	v_cvt_f32_i32_e32 v168, v168                               // 0000000079B0: 7F500BA8
	v_cvt_f32_i32_e32 v169, v169                               // 0000000079B4: 7F520BA9
	v_cvt_f32_i32_e32 v170, v170                               // 0000000079B8: 7F540BAA
	v_cvt_f32_i32_e32 v171, v171                               // 0000000079BC: 7F560BAB
	v_mul_f32_e32 v168, v14, v168                              // 0000000079C0: 0B51510E
	v_mul_f32_e32 v169, v14, v169                              // 0000000079C4: 0B53530E
	v_mul_f32_e32 v170, v14, v170                              // 0000000079C8: 0B55550E
	v_mul_f32_e32 v171, v14, v171                              // 0000000079CC: 0B57570E
	v_mul_f32_dpp v168, v17, v168 row_newbcast:4 row_mask:0xf bank_mask:0xf// 0000000079D0: 0B5150FA FF015411
	v_mul_f32_dpp v169, v17, v169 row_newbcast:5 row_mask:0xf bank_mask:0xf// 0000000079D8: 0B5352FA FF015511
	v_mul_f32_dpp v170, v17, v170 row_newbcast:6 row_mask:0xf bank_mask:0xf// 0000000079E0: 0B5554FA FF015611
	v_mul_f32_dpp v171, v17, v171 row_newbcast:7 row_mask:0xf bank_mask:0xf// 0000000079E8: 0B5756FA FF015711
	v_cvt_f32_i32_e32 v172, v172                               // 0000000079F0: 7F580BAC
	v_cvt_f32_i32_e32 v173, v173                               // 0000000079F4: 7F5A0BAD
	v_cvt_f32_i32_e32 v174, v174                               // 0000000079F8: 7F5C0BAE
	v_cvt_f32_i32_e32 v175, v175                               // 0000000079FC: 7F5E0BAF
	v_mul_f32_e32 v172, v15, v172                              // 000000007A00: 0B59590F
	v_mul_f32_e32 v173, v15, v173                              // 000000007A04: 0B5B5B0F
	v_mul_f32_e32 v174, v15, v174                              // 000000007A08: 0B5D5D0F
	v_mul_f32_e32 v175, v15, v175                              // 000000007A0C: 0B5F5F0F
	v_mul_f32_dpp v172, v17, v172 row_newbcast:4 row_mask:0xf bank_mask:0xf// 000000007A10: 0B5958FA FF015411
	v_mul_f32_dpp v173, v17, v173 row_newbcast:5 row_mask:0xf bank_mask:0xf// 000000007A18: 0B5B5AFA FF015511
	v_mul_f32_dpp v174, v17, v174 row_newbcast:6 row_mask:0xf bank_mask:0xf// 000000007A20: 0B5D5CFA FF015611
	v_mul_f32_dpp v175, v17, v175 row_newbcast:7 row_mask:0xf bank_mask:0xf// 000000007A28: 0B5F5EFA FF015711
	v_cvt_f32_i32_e32 v176, v176                               // 000000007A30: 7F600BB0
	v_cvt_f32_i32_e32 v177, v177                               // 000000007A34: 7F620BB1
	v_cvt_f32_i32_e32 v178, v178                               // 000000007A38: 7F640BB2
	v_cvt_f32_i32_e32 v179, v179                               // 000000007A3C: 7F660BB3
	v_mul_f32_e32 v176, v14, v176                              // 000000007A40: 0B61610E
	v_mul_f32_e32 v177, v14, v177                              // 000000007A44: 0B63630E
	v_mul_f32_e32 v178, v14, v178                              // 000000007A48: 0B65650E
	v_mul_f32_e32 v179, v14, v179                              // 000000007A4C: 0B67670E
	v_mul_f32_dpp v176, v17, v176 row_newbcast:8 row_mask:0xf bank_mask:0xf// 000000007A50: 0B6160FA FF015811
	v_mul_f32_dpp v177, v17, v177 row_newbcast:9 row_mask:0xf bank_mask:0xf// 000000007A58: 0B6362FA FF015911
	v_mul_f32_dpp v178, v17, v178 row_newbcast:10 row_mask:0xf bank_mask:0xf// 000000007A60: 0B6564FA FF015A11
	v_mul_f32_dpp v179, v17, v179 row_newbcast:11 row_mask:0xf bank_mask:0xf// 000000007A68: 0B6766FA FF015B11
	v_cvt_f32_i32_e32 v180, v180                               // 000000007A70: 7F680BB4
	v_cvt_f32_i32_e32 v181, v181                               // 000000007A74: 7F6A0BB5
	v_cvt_f32_i32_e32 v182, v182                               // 000000007A78: 7F6C0BB6
	v_cvt_f32_i32_e32 v183, v183                               // 000000007A7C: 7F6E0BB7
	v_mul_f32_e32 v180, v15, v180                              // 000000007A80: 0B69690F
	v_mul_f32_e32 v181, v15, v181                              // 000000007A84: 0B6B6B0F
	v_mul_f32_e32 v182, v15, v182                              // 000000007A88: 0B6D6D0F
	v_mul_f32_e32 v183, v15, v183                              // 000000007A8C: 0B6F6F0F
	v_mul_f32_dpp v180, v17, v180 row_newbcast:8 row_mask:0xf bank_mask:0xf// 000000007A90: 0B6968FA FF015811
	v_mul_f32_dpp v181, v17, v181 row_newbcast:9 row_mask:0xf bank_mask:0xf// 000000007A98: 0B6B6AFA FF015911
	v_mul_f32_dpp v182, v17, v182 row_newbcast:10 row_mask:0xf bank_mask:0xf// 000000007AA0: 0B6D6CFA FF015A11
	v_mul_f32_dpp v183, v17, v183 row_newbcast:11 row_mask:0xf bank_mask:0xf// 000000007AA8: 0B6F6EFA FF015B11
	s_waitcnt vmcnt(24)                                        // 000000007AB0: BF8C4F78
	buffer_load_dwordx4 a[0:3], v41, s[12:15], 0 offen         // 000000007AB4: E05C1000 80830029
	v_mul_f32_e64 v50, -v128, s6                               // 000000007ABC: D1050032 20000D80
	v_mul_f32_e64 v51, -v129, s6                               // 000000007AC4: D1050033 20000D81
	v_mul_f32_e64 v52, -v130, s6                               // 000000007ACC: D1050034 20000D82
	v_mul_f32_e64 v53, -v131, s6                               // 000000007AD4: D1050035 20000D83
	v_exp_f32_e32 v50, v50                                     // 000000007ADC: 7E644132
	v_exp_f32_e32 v51, v51                                     // 000000007AE0: 7E664133
	v_exp_f32_e32 v52, v52                                     // 000000007AE4: 7E684134
	v_exp_f32_e32 v53, v53                                     // 000000007AE8: 7E6A4135
	buffer_load_dwordx4 a[4:7], v42, s[12:15], 0 offen         // 000000007AEC: E05C1000 8083042A
	v_add_f32_e64 v50, v50, 1.0                                // 000000007AF4: D1010032 0001E532
	v_add_f32_e64 v51, v51, 1.0                                // 000000007AFC: D1010033 0001E533
	v_add_f32_e64 v52, v52, 1.0                                // 000000007B04: D1010034 0001E534
	v_add_f32_e64 v53, v53, 1.0                                // 000000007B0C: D1010035 0001E535
	v_rcp_f32_e32 v50, v50                                     // 000000007B14: 7E644532
	v_rcp_f32_e32 v51, v51                                     // 000000007B18: 7E664533
	v_rcp_f32_e32 v52, v52                                     // 000000007B1C: 7E684534
	v_rcp_f32_e32 v53, v53                                     // 000000007B20: 7E6A4535
	v_mul_f32_e32 v128, v128, v50                              // 000000007B24: 0B006580
	v_mul_f32_e32 v129, v129, v51                              // 000000007B28: 0B026781
	v_mul_f32_e32 v130, v130, v52                              // 000000007B2C: 0B046982
	v_mul_f32_e32 v131, v131, v53                              // 000000007B30: 0B066B83
	buffer_load_dwordx4 a[8:11], v43, s[12:15], 0 offen        // 000000007B34: E05C1000 8083082B
	v_mul_f32_e64 v50, -v132, s6                               // 000000007B3C: D1050032 20000D84
	v_mul_f32_e64 v51, -v133, s6                               // 000000007B44: D1050033 20000D85
	v_mul_f32_e64 v52, -v134, s6                               // 000000007B4C: D1050034 20000D86
	v_mul_f32_e64 v53, -v135, s6                               // 000000007B54: D1050035 20000D87
	v_exp_f32_e32 v50, v50                                     // 000000007B5C: 7E644132
	v_exp_f32_e32 v51, v51                                     // 000000007B60: 7E664133
	v_exp_f32_e32 v52, v52                                     // 000000007B64: 7E684134
	v_exp_f32_e32 v53, v53                                     // 000000007B68: 7E6A4135
	buffer_load_dwordx4 a[12:15], v44, s[12:15], 0 offen       // 000000007B6C: E05C1000 80830C2C
	s_add_u32 s12, s78, s12                                    // 000000007B74: 800C0C4E
	s_addc_u32 s13, 0, s13                                     // 000000007B78: 820D0D80
	v_add_f32_e64 v50, v50, 1.0                                // 000000007B7C: D1010032 0001E532
	v_add_f32_e64 v51, v51, 1.0                                // 000000007B84: D1010033 0001E533
	v_add_f32_e64 v52, v52, 1.0                                // 000000007B8C: D1010034 0001E534
	v_add_f32_e64 v53, v53, 1.0                                // 000000007B94: D1010035 0001E535
	v_rcp_f32_e32 v50, v50                                     // 000000007B9C: 7E644532
	v_rcp_f32_e32 v51, v51                                     // 000000007BA0: 7E664533
	v_rcp_f32_e32 v52, v52                                     // 000000007BA4: 7E684534
	v_rcp_f32_e32 v53, v53                                     // 000000007BA8: 7E6A4535
	v_mul_f32_e32 v132, v132, v50                              // 000000007BAC: 0B086584
	v_mul_f32_e32 v133, v133, v51                              // 000000007BB0: 0B0A6785
	v_mul_f32_e32 v134, v134, v52                              // 000000007BB4: 0B0C6986
	v_mul_f32_e32 v135, v135, v53                              // 000000007BB8: 0B0E6B87
	s_waitcnt vmcnt(24)                                        // 000000007BBC: BF8C4F78
	buffer_load_dwordx4 a[16:19], v41, s[12:15], 0 offen       // 000000007BC0: E05C1000 80831029
	v_mul_f32_e64 v50, -v136, s6                               // 000000007BC8: D1050032 20000D88
	v_mul_f32_e64 v51, -v137, s6                               // 000000007BD0: D1050033 20000D89
	v_mul_f32_e64 v52, -v138, s6                               // 000000007BD8: D1050034 20000D8A
	v_mul_f32_e64 v53, -v139, s6                               // 000000007BE0: D1050035 20000D8B
	v_exp_f32_e32 v50, v50                                     // 000000007BE8: 7E644132
	v_exp_f32_e32 v51, v51                                     // 000000007BEC: 7E664133
	v_exp_f32_e32 v52, v52                                     // 000000007BF0: 7E684134
	v_exp_f32_e32 v53, v53                                     // 000000007BF4: 7E6A4135
	buffer_load_dwordx4 a[20:23], v42, s[12:15], 0 offen       // 000000007BF8: E05C1000 8083142A
	v_add_f32_e64 v50, v50, 1.0                                // 000000007C00: D1010032 0001E532
	v_add_f32_e64 v51, v51, 1.0                                // 000000007C08: D1010033 0001E533
	v_add_f32_e64 v52, v52, 1.0                                // 000000007C10: D1010034 0001E534
	v_add_f32_e64 v53, v53, 1.0                                // 000000007C18: D1010035 0001E535
	v_rcp_f32_e32 v50, v50                                     // 000000007C20: 7E644532
	v_rcp_f32_e32 v51, v51                                     // 000000007C24: 7E664533
	v_rcp_f32_e32 v52, v52                                     // 000000007C28: 7E684534
	v_rcp_f32_e32 v53, v53                                     // 000000007C2C: 7E6A4535
	v_mul_f32_e32 v136, v136, v50                              // 000000007C30: 0B106588
	v_mul_f32_e32 v137, v137, v51                              // 000000007C34: 0B126789
	v_mul_f32_e32 v138, v138, v52                              // 000000007C38: 0B14698A
	v_mul_f32_e32 v139, v139, v53                              // 000000007C3C: 0B166B8B
	buffer_load_dwordx4 a[24:27], v43, s[12:15], 0 offen       // 000000007C40: E05C1000 8083182B
	v_mul_f32_e64 v50, -v140, s6                               // 000000007C48: D1050032 20000D8C
	v_mul_f32_e64 v51, -v141, s6                               // 000000007C50: D1050033 20000D8D
	v_mul_f32_e64 v52, -v142, s6                               // 000000007C58: D1050034 20000D8E
	v_mul_f32_e64 v53, -v143, s6                               // 000000007C60: D1050035 20000D8F
	v_exp_f32_e32 v50, v50                                     // 000000007C68: 7E644132
	v_exp_f32_e32 v51, v51                                     // 000000007C6C: 7E664133
	v_exp_f32_e32 v52, v52                                     // 000000007C70: 7E684134
	v_exp_f32_e32 v53, v53                                     // 000000007C74: 7E6A4135
	buffer_load_dwordx4 a[28:31], v44, s[12:15], 0 offen       // 000000007C78: E05C1000 80831C2C
	s_add_u32 s12, s78, s12                                    // 000000007C80: 800C0C4E
	s_addc_u32 s13, 0, s13                                     // 000000007C84: 820D0D80
	v_add_f32_e64 v50, v50, 1.0                                // 000000007C88: D1010032 0001E532
	v_add_f32_e64 v51, v51, 1.0                                // 000000007C90: D1010033 0001E533
	v_add_f32_e64 v52, v52, 1.0                                // 000000007C98: D1010034 0001E534
	v_add_f32_e64 v53, v53, 1.0                                // 000000007CA0: D1010035 0001E535
	v_rcp_f32_e32 v50, v50                                     // 000000007CA8: 7E644532
	v_rcp_f32_e32 v51, v51                                     // 000000007CAC: 7E664533
	v_rcp_f32_e32 v52, v52                                     // 000000007CB0: 7E684534
	v_rcp_f32_e32 v53, v53                                     // 000000007CB4: 7E6A4535
	v_mul_f32_e32 v140, v140, v50                              // 000000007CB8: 0B18658C
	v_mul_f32_e32 v141, v141, v51                              // 000000007CBC: 0B1A678D
	v_mul_f32_e32 v142, v142, v52                              // 000000007CC0: 0B1C698E
	v_mul_f32_e32 v143, v143, v53                              // 000000007CC4: 0B1E6B8F
	s_waitcnt vmcnt(24)                                        // 000000007CC8: BF8C4F78
	buffer_load_dwordx4 a[32:35], v41, s[12:15], 0 offen       // 000000007CCC: E05C1000 80832029
	v_mul_f32_e64 v50, -v144, s6                               // 000000007CD4: D1050032 20000D90
	v_mul_f32_e64 v51, -v145, s6                               // 000000007CDC: D1050033 20000D91
	v_mul_f32_e64 v52, -v146, s6                               // 000000007CE4: D1050034 20000D92
	v_mul_f32_e64 v53, -v147, s6                               // 000000007CEC: D1050035 20000D93
	v_exp_f32_e32 v50, v50                                     // 000000007CF4: 7E644132
	v_exp_f32_e32 v51, v51                                     // 000000007CF8: 7E664133
	v_exp_f32_e32 v52, v52                                     // 000000007CFC: 7E684134
	v_exp_f32_e32 v53, v53                                     // 000000007D00: 7E6A4135
	buffer_load_dwordx4 a[36:39], v42, s[12:15], 0 offen       // 000000007D04: E05C1000 8083242A
	v_add_f32_e64 v50, v50, 1.0                                // 000000007D0C: D1010032 0001E532
	v_add_f32_e64 v51, v51, 1.0                                // 000000007D14: D1010033 0001E533
	v_add_f32_e64 v52, v52, 1.0                                // 000000007D1C: D1010034 0001E534
	v_add_f32_e64 v53, v53, 1.0                                // 000000007D24: D1010035 0001E535
	v_rcp_f32_e32 v50, v50                                     // 000000007D2C: 7E644532
	v_rcp_f32_e32 v51, v51                                     // 000000007D30: 7E664533
	v_rcp_f32_e32 v52, v52                                     // 000000007D34: 7E684534
	v_rcp_f32_e32 v53, v53                                     // 000000007D38: 7E6A4535
	v_mul_f32_e32 v144, v144, v50                              // 000000007D3C: 0B206590
	v_mul_f32_e32 v145, v145, v51                              // 000000007D40: 0B226791
	v_mul_f32_e32 v146, v146, v52                              // 000000007D44: 0B246992
	v_mul_f32_e32 v147, v147, v53                              // 000000007D48: 0B266B93
	buffer_load_dwordx4 a[40:43], v43, s[12:15], 0 offen       // 000000007D4C: E05C1000 8083282B
	v_mul_f32_e64 v50, -v148, s6                               // 000000007D54: D1050032 20000D94
	v_mul_f32_e64 v51, -v149, s6                               // 000000007D5C: D1050033 20000D95
	v_mul_f32_e64 v52, -v150, s6                               // 000000007D64: D1050034 20000D96
	v_mul_f32_e64 v53, -v151, s6                               // 000000007D6C: D1050035 20000D97
	v_exp_f32_e32 v50, v50                                     // 000000007D74: 7E644132
	v_exp_f32_e32 v51, v51                                     // 000000007D78: 7E664133
	v_exp_f32_e32 v52, v52                                     // 000000007D7C: 7E684134
	v_exp_f32_e32 v53, v53                                     // 000000007D80: 7E6A4135
	buffer_load_dwordx4 a[44:47], v44, s[12:15], 0 offen       // 000000007D84: E05C1000 80832C2C
	s_add_u32 s12, s78, s12                                    // 000000007D8C: 800C0C4E
	s_addc_u32 s13, 0, s13                                     // 000000007D90: 820D0D80
	v_add_f32_e64 v50, v50, 1.0                                // 000000007D94: D1010032 0001E532
	v_add_f32_e64 v51, v51, 1.0                                // 000000007D9C: D1010033 0001E533
	v_add_f32_e64 v52, v52, 1.0                                // 000000007DA4: D1010034 0001E534
	v_add_f32_e64 v53, v53, 1.0                                // 000000007DAC: D1010035 0001E535
	v_rcp_f32_e32 v50, v50                                     // 000000007DB4: 7E644532
	v_rcp_f32_e32 v51, v51                                     // 000000007DB8: 7E664533
	v_rcp_f32_e32 v52, v52                                     // 000000007DBC: 7E684534
	v_rcp_f32_e32 v53, v53                                     // 000000007DC0: 7E6A4535
	v_mul_f32_e32 v148, v148, v50                              // 000000007DC4: 0B286594
	v_mul_f32_e32 v149, v149, v51                              // 000000007DC8: 0B2A6795
	v_mul_f32_e32 v150, v150, v52                              // 000000007DCC: 0B2C6996
	v_mul_f32_e32 v151, v151, v53                              // 000000007DD0: 0B2E6B97
	s_waitcnt vmcnt(24)                                        // 000000007DD4: BF8C4F78
	buffer_load_dwordx4 a[48:51], v41, s[12:15], 0 offen       // 000000007DD8: E05C1000 80833029
	v_mul_f32_e64 v50, -v152, s6                               // 000000007DE0: D1050032 20000D98
	v_mul_f32_e64 v51, -v153, s6                               // 000000007DE8: D1050033 20000D99
	v_mul_f32_e64 v52, -v154, s6                               // 000000007DF0: D1050034 20000D9A
	v_mul_f32_e64 v53, -v155, s6                               // 000000007DF8: D1050035 20000D9B
	v_exp_f32_e32 v50, v50                                     // 000000007E00: 7E644132
	v_exp_f32_e32 v51, v51                                     // 000000007E04: 7E664133
	v_exp_f32_e32 v52, v52                                     // 000000007E08: 7E684134
	v_exp_f32_e32 v53, v53                                     // 000000007E0C: 7E6A4135
	buffer_load_dwordx4 a[52:55], v42, s[12:15], 0 offen       // 000000007E10: E05C1000 8083342A
	v_add_f32_e64 v50, v50, 1.0                                // 000000007E18: D1010032 0001E532
	v_add_f32_e64 v51, v51, 1.0                                // 000000007E20: D1010033 0001E533
	v_add_f32_e64 v52, v52, 1.0                                // 000000007E28: D1010034 0001E534
	v_add_f32_e64 v53, v53, 1.0                                // 000000007E30: D1010035 0001E535
	v_rcp_f32_e32 v50, v50                                     // 000000007E38: 7E644532
	v_rcp_f32_e32 v51, v51                                     // 000000007E3C: 7E664533
	v_rcp_f32_e32 v52, v52                                     // 000000007E40: 7E684534
	v_rcp_f32_e32 v53, v53                                     // 000000007E44: 7E6A4535
	v_mul_f32_e32 v152, v152, v50                              // 000000007E48: 0B306598
	v_mul_f32_e32 v153, v153, v51                              // 000000007E4C: 0B326799
	v_mul_f32_e32 v154, v154, v52                              // 000000007E50: 0B34699A
	v_mul_f32_e32 v155, v155, v53                              // 000000007E54: 0B366B9B
	buffer_load_dwordx4 a[56:59], v43, s[12:15], 0 offen       // 000000007E58: E05C1000 8083382B
	v_mul_f32_e64 v50, -v156, s6                               // 000000007E60: D1050032 20000D9C
	v_mul_f32_e64 v51, -v157, s6                               // 000000007E68: D1050033 20000D9D
	v_mul_f32_e64 v52, -v158, s6                               // 000000007E70: D1050034 20000D9E
	v_mul_f32_e64 v53, -v159, s6                               // 000000007E78: D1050035 20000D9F
	v_exp_f32_e32 v50, v50                                     // 000000007E80: 7E644132
	v_exp_f32_e32 v51, v51                                     // 000000007E84: 7E664133
	v_exp_f32_e32 v52, v52                                     // 000000007E88: 7E684134
	v_exp_f32_e32 v53, v53                                     // 000000007E8C: 7E6A4135
	buffer_load_dwordx4 a[60:63], v44, s[12:15], 0 offen       // 000000007E90: E05C1000 80833C2C
	s_add_u32 s12, s78, s12                                    // 000000007E98: 800C0C4E
	s_addc_u32 s13, 0, s13                                     // 000000007E9C: 820D0D80
	v_add_f32_e64 v50, v50, 1.0                                // 000000007EA0: D1010032 0001E532
	v_add_f32_e64 v51, v51, 1.0                                // 000000007EA8: D1010033 0001E533
	v_add_f32_e64 v52, v52, 1.0                                // 000000007EB0: D1010034 0001E534
	v_add_f32_e64 v53, v53, 1.0                                // 000000007EB8: D1010035 0001E535
	v_rcp_f32_e32 v50, v50                                     // 000000007EC0: 7E644532
	v_rcp_f32_e32 v51, v51                                     // 000000007EC4: 7E664533
	v_rcp_f32_e32 v52, v52                                     // 000000007EC8: 7E684534
	v_rcp_f32_e32 v53, v53                                     // 000000007ECC: 7E6A4535
	v_mul_f32_e32 v156, v156, v50                              // 000000007ED0: 0B38659C
	v_mul_f32_e32 v157, v157, v51                              // 000000007ED4: 0B3A679D
	v_mul_f32_e32 v158, v158, v52                              // 000000007ED8: 0B3C699E
	v_mul_f32_e32 v159, v159, v53                              // 000000007EDC: 0B3E6B9F
	s_waitcnt vmcnt(24)                                        // 000000007EE0: BF8C4F78
	buffer_load_dwordx4 a[64:67], v41, s[12:15], 0 offen       // 000000007EE4: E05C1000 80834029
	v_mul_f32_e64 v50, -v160, s6                               // 000000007EEC: D1050032 20000DA0
	v_mul_f32_e64 v51, -v161, s6                               // 000000007EF4: D1050033 20000DA1
	v_mul_f32_e64 v52, -v162, s6                               // 000000007EFC: D1050034 20000DA2
	v_mul_f32_e64 v53, -v163, s6                               // 000000007F04: D1050035 20000DA3
	v_exp_f32_e32 v50, v50                                     // 000000007F0C: 7E644132
	v_exp_f32_e32 v51, v51                                     // 000000007F10: 7E664133
	v_exp_f32_e32 v52, v52                                     // 000000007F14: 7E684134
	v_exp_f32_e32 v53, v53                                     // 000000007F18: 7E6A4135
	buffer_load_dwordx4 a[68:71], v42, s[12:15], 0 offen       // 000000007F1C: E05C1000 8083442A
	v_add_f32_e64 v50, v50, 1.0                                // 000000007F24: D1010032 0001E532
	v_add_f32_e64 v51, v51, 1.0                                // 000000007F2C: D1010033 0001E533
	v_add_f32_e64 v52, v52, 1.0                                // 000000007F34: D1010034 0001E534
	v_add_f32_e64 v53, v53, 1.0                                // 000000007F3C: D1010035 0001E535
	v_rcp_f32_e32 v50, v50                                     // 000000007F44: 7E644532
	v_rcp_f32_e32 v51, v51                                     // 000000007F48: 7E664533
	v_rcp_f32_e32 v52, v52                                     // 000000007F4C: 7E684534
	v_rcp_f32_e32 v53, v53                                     // 000000007F50: 7E6A4535
	v_mul_f32_e32 v160, v160, v50                              // 000000007F54: 0B4065A0
	v_mul_f32_e32 v161, v161, v51                              // 000000007F58: 0B4267A1
	v_mul_f32_e32 v162, v162, v52                              // 000000007F5C: 0B4469A2
	v_mul_f32_e32 v163, v163, v53                              // 000000007F60: 0B466BA3
	buffer_load_dwordx4 a[72:75], v43, s[12:15], 0 offen       // 000000007F64: E05C1000 8083482B
	v_mul_f32_e64 v50, -v164, s6                               // 000000007F6C: D1050032 20000DA4
	v_mul_f32_e64 v51, -v165, s6                               // 000000007F74: D1050033 20000DA5
	v_mul_f32_e64 v52, -v166, s6                               // 000000007F7C: D1050034 20000DA6
	v_mul_f32_e64 v53, -v167, s6                               // 000000007F84: D1050035 20000DA7
	v_exp_f32_e32 v50, v50                                     // 000000007F8C: 7E644132
	v_exp_f32_e32 v51, v51                                     // 000000007F90: 7E664133
	v_exp_f32_e32 v52, v52                                     // 000000007F94: 7E684134
	v_exp_f32_e32 v53, v53                                     // 000000007F98: 7E6A4135
	buffer_load_dwordx4 a[76:79], v44, s[12:15], 0 offen       // 000000007F9C: E05C1000 80834C2C
	s_add_u32 s12, s78, s12                                    // 000000007FA4: 800C0C4E
	s_addc_u32 s13, 0, s13                                     // 000000007FA8: 820D0D80
	v_add_f32_e64 v50, v50, 1.0                                // 000000007FAC: D1010032 0001E532
	v_add_f32_e64 v51, v51, 1.0                                // 000000007FB4: D1010033 0001E533
	v_add_f32_e64 v52, v52, 1.0                                // 000000007FBC: D1010034 0001E534
	v_add_f32_e64 v53, v53, 1.0                                // 000000007FC4: D1010035 0001E535
	v_rcp_f32_e32 v50, v50                                     // 000000007FCC: 7E644532
	v_rcp_f32_e32 v51, v51                                     // 000000007FD0: 7E664533
	v_rcp_f32_e32 v52, v52                                     // 000000007FD4: 7E684534
	v_rcp_f32_e32 v53, v53                                     // 000000007FD8: 7E6A4535
	v_mul_f32_e32 v164, v164, v50                              // 000000007FDC: 0B4865A4
	v_mul_f32_e32 v165, v165, v51                              // 000000007FE0: 0B4A67A5
	v_mul_f32_e32 v166, v166, v52                              // 000000007FE4: 0B4C69A6
	v_mul_f32_e32 v167, v167, v53                              // 000000007FE8: 0B4E6BA7
	s_waitcnt vmcnt(24)                                        // 000000007FEC: BF8C4F78
	buffer_load_dwordx4 a[80:83], v41, s[12:15], 0 offen       // 000000007FF0: E05C1000 80835029
	v_mul_f32_e64 v50, -v168, s6                               // 000000007FF8: D1050032 20000DA8
	v_mul_f32_e64 v51, -v169, s6                               // 000000008000: D1050033 20000DA9
	v_mul_f32_e64 v52, -v170, s6                               // 000000008008: D1050034 20000DAA
	v_mul_f32_e64 v53, -v171, s6                               // 000000008010: D1050035 20000DAB
	v_exp_f32_e32 v50, v50                                     // 000000008018: 7E644132
	v_exp_f32_e32 v51, v51                                     // 00000000801C: 7E664133
	v_exp_f32_e32 v52, v52                                     // 000000008020: 7E684134
	v_exp_f32_e32 v53, v53                                     // 000000008024: 7E6A4135
	buffer_load_dwordx4 a[84:87], v42, s[12:15], 0 offen       // 000000008028: E05C1000 8083542A
	v_add_f32_e64 v50, v50, 1.0                                // 000000008030: D1010032 0001E532
	v_add_f32_e64 v51, v51, 1.0                                // 000000008038: D1010033 0001E533
	v_add_f32_e64 v52, v52, 1.0                                // 000000008040: D1010034 0001E534
	v_add_f32_e64 v53, v53, 1.0                                // 000000008048: D1010035 0001E535
	v_rcp_f32_e32 v50, v50                                     // 000000008050: 7E644532
	v_rcp_f32_e32 v51, v51                                     // 000000008054: 7E664533
	v_rcp_f32_e32 v52, v52                                     // 000000008058: 7E684534
	v_rcp_f32_e32 v53, v53                                     // 00000000805C: 7E6A4535
	v_mul_f32_e32 v168, v168, v50                              // 000000008060: 0B5065A8
	v_mul_f32_e32 v169, v169, v51                              // 000000008064: 0B5267A9
	v_mul_f32_e32 v170, v170, v52                              // 000000008068: 0B5469AA
	v_mul_f32_e32 v171, v171, v53                              // 00000000806C: 0B566BAB
	buffer_load_dwordx4 a[88:91], v43, s[12:15], 0 offen       // 000000008070: E05C1000 8083582B
	v_mul_f32_e64 v50, -v172, s6                               // 000000008078: D1050032 20000DAC
	v_mul_f32_e64 v51, -v173, s6                               // 000000008080: D1050033 20000DAD
	v_mul_f32_e64 v52, -v174, s6                               // 000000008088: D1050034 20000DAE
	v_mul_f32_e64 v53, -v175, s6                               // 000000008090: D1050035 20000DAF
	v_exp_f32_e32 v50, v50                                     // 000000008098: 7E644132
	v_exp_f32_e32 v51, v51                                     // 00000000809C: 7E664133
	v_exp_f32_e32 v52, v52                                     // 0000000080A0: 7E684134
	v_exp_f32_e32 v53, v53                                     // 0000000080A4: 7E6A4135
	buffer_load_dwordx4 a[92:95], v44, s[12:15], 0 offen       // 0000000080A8: E05C1000 80835C2C
	s_add_u32 s12, s78, s12                                    // 0000000080B0: 800C0C4E
	s_addc_u32 s13, 0, s13                                     // 0000000080B4: 820D0D80
	v_add_f32_e64 v50, v50, 1.0                                // 0000000080B8: D1010032 0001E532
	v_add_f32_e64 v51, v51, 1.0                                // 0000000080C0: D1010033 0001E533
	v_add_f32_e64 v52, v52, 1.0                                // 0000000080C8: D1010034 0001E534
	v_add_f32_e64 v53, v53, 1.0                                // 0000000080D0: D1010035 0001E535
	v_rcp_f32_e32 v50, v50                                     // 0000000080D8: 7E644532
	v_rcp_f32_e32 v51, v51                                     // 0000000080DC: 7E664533
	v_rcp_f32_e32 v52, v52                                     // 0000000080E0: 7E684534
	v_rcp_f32_e32 v53, v53                                     // 0000000080E4: 7E6A4535
	v_mul_f32_e32 v172, v172, v50                              // 0000000080E8: 0B5865AC
	v_mul_f32_e32 v173, v173, v51                              // 0000000080EC: 0B5A67AD
	v_mul_f32_e32 v174, v174, v52                              // 0000000080F0: 0B5C69AE
	v_mul_f32_e32 v175, v175, v53                              // 0000000080F4: 0B5E6BAF
	s_waitcnt vmcnt(24)                                        // 0000000080F8: BF8C4F78
	buffer_load_dwordx4 a[96:99], v41, s[12:15], 0 offen       // 0000000080FC: E05C1000 80836029
	v_mul_f32_e64 v50, -v176, s6                               // 000000008104: D1050032 20000DB0
	v_mul_f32_e64 v51, -v177, s6                               // 00000000810C: D1050033 20000DB1
	v_mul_f32_e64 v52, -v178, s6                               // 000000008114: D1050034 20000DB2
	v_mul_f32_e64 v53, -v179, s6                               // 00000000811C: D1050035 20000DB3
	v_exp_f32_e32 v50, v50                                     // 000000008124: 7E644132
	v_exp_f32_e32 v51, v51                                     // 000000008128: 7E664133
	v_exp_f32_e32 v52, v52                                     // 00000000812C: 7E684134
	v_exp_f32_e32 v53, v53                                     // 000000008130: 7E6A4135
	buffer_load_dwordx4 a[100:103], v42, s[12:15], 0 offen     // 000000008134: E05C1000 8083642A
	v_add_f32_e64 v50, v50, 1.0                                // 00000000813C: D1010032 0001E532
	v_add_f32_e64 v51, v51, 1.0                                // 000000008144: D1010033 0001E533
	v_add_f32_e64 v52, v52, 1.0                                // 00000000814C: D1010034 0001E534
	v_add_f32_e64 v53, v53, 1.0                                // 000000008154: D1010035 0001E535
	v_rcp_f32_e32 v50, v50                                     // 00000000815C: 7E644532
	v_rcp_f32_e32 v51, v51                                     // 000000008160: 7E664533
	v_rcp_f32_e32 v52, v52                                     // 000000008164: 7E684534
	v_rcp_f32_e32 v53, v53                                     // 000000008168: 7E6A4535
	v_mul_f32_e32 v176, v176, v50                              // 00000000816C: 0B6065B0
	v_mul_f32_e32 v177, v177, v51                              // 000000008170: 0B6267B1
	v_mul_f32_e32 v178, v178, v52                              // 000000008174: 0B6469B2
	v_mul_f32_e32 v179, v179, v53                              // 000000008178: 0B666BB3
	buffer_load_dwordx4 a[104:107], v43, s[12:15], 0 offen     // 00000000817C: E05C1000 8083682B
	v_mul_f32_e64 v50, -v180, s6                               // 000000008184: D1050032 20000DB4
	v_mul_f32_e64 v51, -v181, s6                               // 00000000818C: D1050033 20000DB5
	v_mul_f32_e64 v52, -v182, s6                               // 000000008194: D1050034 20000DB6
	v_mul_f32_e64 v53, -v183, s6                               // 00000000819C: D1050035 20000DB7
	v_exp_f32_e32 v50, v50                                     // 0000000081A4: 7E644132
	v_exp_f32_e32 v51, v51                                     // 0000000081A8: 7E664133
	v_exp_f32_e32 v52, v52                                     // 0000000081AC: 7E684134
	v_exp_f32_e32 v53, v53                                     // 0000000081B0: 7E6A4135
	buffer_load_dwordx4 a[108:111], v44, s[12:15], 0 offen     // 0000000081B4: E05C1000 80836C2C
	v_add_f32_e64 v50, v50, 1.0                                // 0000000081BC: D1010032 0001E532
	v_add_f32_e64 v51, v51, 1.0                                // 0000000081C4: D1010033 0001E533
	v_add_f32_e64 v52, v52, 1.0                                // 0000000081CC: D1010034 0001E534
	v_add_f32_e64 v53, v53, 1.0                                // 0000000081D4: D1010035 0001E535
	v_rcp_f32_e32 v50, v50                                     // 0000000081DC: 7E644532
	v_rcp_f32_e32 v51, v51                                     // 0000000081E0: 7E664533
	v_rcp_f32_e32 v52, v52                                     // 0000000081E4: 7E684534
	v_rcp_f32_e32 v53, v53                                     // 0000000081E8: 7E6A4535
	v_mul_f32_e32 v180, v180, v50                              // 0000000081EC: 0B6865B4
	v_mul_f32_e32 v181, v181, v51                              // 0000000081F0: 0B6A67B5
	v_mul_f32_e32 v182, v182, v52                              // 0000000081F4: 0B6C69B6
	v_mul_f32_e32 v183, v183, v53                              // 0000000081F8: 0B6E6BB7
	v_mul_f32_dpp v128, v18, v128 row_newbcast:0 row_mask:0xf bank_mask:0xf// 0000000081FC: 0B0100FA FF015012
	v_mul_f32_dpp v129, v18, v129 row_newbcast:1 row_mask:0xf bank_mask:0xf// 000000008204: 0B0302FA FF015112
	v_mul_f32_dpp v130, v18, v130 row_newbcast:2 row_mask:0xf bank_mask:0xf// 00000000820C: 0B0504FA FF015212
	v_mul_f32_dpp v131, v18, v131 row_newbcast:3 row_mask:0xf bank_mask:0xf// 000000008214: 0B0706FA FF015312
	v_mul_f32_dpp v132, v18, v132 row_newbcast:0 row_mask:0xf bank_mask:0xf// 00000000821C: 0B0908FA FF015012
	v_mul_f32_dpp v133, v18, v133 row_newbcast:1 row_mask:0xf bank_mask:0xf// 000000008224: 0B0B0AFA FF015112
	v_mul_f32_dpp v134, v18, v134 row_newbcast:2 row_mask:0xf bank_mask:0xf// 00000000822C: 0B0D0CFA FF015212
	v_mul_f32_dpp v135, v18, v135 row_newbcast:3 row_mask:0xf bank_mask:0xf// 000000008234: 0B0F0EFA FF015312
	v_mul_f32_dpp v136, v18, v136 row_newbcast:4 row_mask:0xf bank_mask:0xf// 00000000823C: 0B1110FA FF015412
	v_mul_f32_dpp v137, v18, v137 row_newbcast:5 row_mask:0xf bank_mask:0xf// 000000008244: 0B1312FA FF015512
	v_mul_f32_dpp v138, v18, v138 row_newbcast:6 row_mask:0xf bank_mask:0xf// 00000000824C: 0B1514FA FF015612
	v_mul_f32_dpp v139, v18, v139 row_newbcast:7 row_mask:0xf bank_mask:0xf// 000000008254: 0B1716FA FF015712
	v_mul_f32_dpp v140, v18, v140 row_newbcast:4 row_mask:0xf bank_mask:0xf// 00000000825C: 0B1918FA FF015412
	v_mul_f32_dpp v141, v18, v141 row_newbcast:5 row_mask:0xf bank_mask:0xf// 000000008264: 0B1B1AFA FF015512
	v_mul_f32_dpp v142, v18, v142 row_newbcast:6 row_mask:0xf bank_mask:0xf// 00000000826C: 0B1D1CFA FF015612
	v_mul_f32_dpp v143, v18, v143 row_newbcast:7 row_mask:0xf bank_mask:0xf// 000000008274: 0B1F1EFA FF015712
	v_mul_f32_dpp v144, v18, v144 row_newbcast:8 row_mask:0xf bank_mask:0xf// 00000000827C: 0B2120FA FF015812
	v_mul_f32_dpp v145, v18, v145 row_newbcast:9 row_mask:0xf bank_mask:0xf// 000000008284: 0B2322FA FF015912
	v_mul_f32_dpp v146, v18, v146 row_newbcast:10 row_mask:0xf bank_mask:0xf// 00000000828C: 0B2524FA FF015A12
	v_mul_f32_dpp v147, v18, v147 row_newbcast:11 row_mask:0xf bank_mask:0xf// 000000008294: 0B2726FA FF015B12
	v_mul_f32_dpp v148, v18, v148 row_newbcast:8 row_mask:0xf bank_mask:0xf// 00000000829C: 0B2928FA FF015812
	v_mul_f32_dpp v149, v18, v149 row_newbcast:9 row_mask:0xf bank_mask:0xf// 0000000082A4: 0B2B2AFA FF015912
	v_mul_f32_dpp v150, v18, v150 row_newbcast:10 row_mask:0xf bank_mask:0xf// 0000000082AC: 0B2D2CFA FF015A12
	v_mul_f32_dpp v151, v18, v151 row_newbcast:11 row_mask:0xf bank_mask:0xf// 0000000082B4: 0B2F2EFA FF015B12
	v_mul_f32_dpp v152, v18, v152 row_newbcast:12 row_mask:0xf bank_mask:0xf// 0000000082BC: 0B3130FA FF015C12
	v_mul_f32_dpp v153, v18, v153 row_newbcast:13 row_mask:0xf bank_mask:0xf// 0000000082C4: 0B3332FA FF015D12
	v_mul_f32_dpp v154, v18, v154 row_newbcast:14 row_mask:0xf bank_mask:0xf// 0000000082CC: 0B3534FA FF015E12
	v_mul_f32_dpp v155, v18, v155 row_newbcast:15 row_mask:0xf bank_mask:0xf// 0000000082D4: 0B3736FA FF015F12
	v_mul_f32_dpp v156, v18, v156 row_newbcast:12 row_mask:0xf bank_mask:0xf// 0000000082DC: 0B3938FA FF015C12
	v_mul_f32_dpp v157, v18, v157 row_newbcast:13 row_mask:0xf bank_mask:0xf// 0000000082E4: 0B3B3AFA FF015D12
	v_mul_f32_dpp v158, v18, v158 row_newbcast:14 row_mask:0xf bank_mask:0xf// 0000000082EC: 0B3D3CFA FF015E12
	v_mul_f32_dpp v159, v18, v159 row_newbcast:15 row_mask:0xf bank_mask:0xf// 0000000082F4: 0B3F3EFA FF015F12
	v_mul_f32_dpp v160, v19, v160 row_newbcast:0 row_mask:0xf bank_mask:0xf// 0000000082FC: 0B4140FA FF015013
	v_mul_f32_dpp v161, v19, v161 row_newbcast:1 row_mask:0xf bank_mask:0xf// 000000008304: 0B4342FA FF015113
	v_mul_f32_dpp v162, v19, v162 row_newbcast:2 row_mask:0xf bank_mask:0xf// 00000000830C: 0B4544FA FF015213
	v_mul_f32_dpp v163, v19, v163 row_newbcast:3 row_mask:0xf bank_mask:0xf// 000000008314: 0B4746FA FF015313
	v_mul_f32_dpp v164, v19, v164 row_newbcast:0 row_mask:0xf bank_mask:0xf// 00000000831C: 0B4948FA FF015013
	v_mul_f32_dpp v165, v19, v165 row_newbcast:1 row_mask:0xf bank_mask:0xf// 000000008324: 0B4B4AFA FF015113
	v_mul_f32_dpp v166, v19, v166 row_newbcast:2 row_mask:0xf bank_mask:0xf// 00000000832C: 0B4D4CFA FF015213
	v_mul_f32_dpp v167, v19, v167 row_newbcast:3 row_mask:0xf bank_mask:0xf// 000000008334: 0B4F4EFA FF015313
	v_mul_f32_dpp v168, v19, v168 row_newbcast:4 row_mask:0xf bank_mask:0xf// 00000000833C: 0B5150FA FF015413
	v_mul_f32_dpp v169, v19, v169 row_newbcast:5 row_mask:0xf bank_mask:0xf// 000000008344: 0B5352FA FF015513
	v_mul_f32_dpp v170, v19, v170 row_newbcast:6 row_mask:0xf bank_mask:0xf// 00000000834C: 0B5554FA FF015613
	v_mul_f32_dpp v171, v19, v171 row_newbcast:7 row_mask:0xf bank_mask:0xf// 000000008354: 0B5756FA FF015713
	v_mul_f32_dpp v172, v19, v172 row_newbcast:4 row_mask:0xf bank_mask:0xf// 00000000835C: 0B5958FA FF015413
	v_mul_f32_dpp v173, v19, v173 row_newbcast:5 row_mask:0xf bank_mask:0xf// 000000008364: 0B5B5AFA FF015513
	v_mul_f32_dpp v174, v19, v174 row_newbcast:6 row_mask:0xf bank_mask:0xf// 00000000836C: 0B5D5CFA FF015613
	v_mul_f32_dpp v175, v19, v175 row_newbcast:7 row_mask:0xf bank_mask:0xf// 000000008374: 0B5F5EFA FF015713
	v_mul_f32_dpp v176, v19, v176 row_newbcast:8 row_mask:0xf bank_mask:0xf// 00000000837C: 0B6160FA FF015813
	v_mul_f32_dpp v177, v19, v177 row_newbcast:9 row_mask:0xf bank_mask:0xf// 000000008384: 0B6362FA FF015913
	v_mul_f32_dpp v178, v19, v178 row_newbcast:10 row_mask:0xf bank_mask:0xf// 00000000838C: 0B6564FA FF015A13
	v_mul_f32_dpp v179, v19, v179 row_newbcast:11 row_mask:0xf bank_mask:0xf// 000000008394: 0B6766FA FF015B13
	v_mul_f32_dpp v180, v19, v180 row_newbcast:8 row_mask:0xf bank_mask:0xf// 00000000839C: 0B6968FA FF015813
	v_mul_f32_dpp v181, v19, v181 row_newbcast:9 row_mask:0xf bank_mask:0xf// 0000000083A4: 0B6B6AFA FF015913
	v_mul_f32_dpp v182, v19, v182 row_newbcast:10 row_mask:0xf bank_mask:0xf// 0000000083AC: 0B6D6CFA FF015A13
	v_mul_f32_dpp v183, v19, v183 row_newbcast:11 row_mask:0xf bank_mask:0xf// 0000000083B4: 0B6F6EFA FF015B13
	buffer_load_dword v12, v5, s[16:19], 0 offen               // 0000000083BC: E0501000 80040C05
	v_mov_b32_e32 v22, 0x358637bd                              // 0000000083C4: 7E2C02FF 358637BD
	v_mov_b32_e32 v23, 0x358637bd                              // 0000000083CC: 7E2E02FF 358637BD
	v_max3_f32 v22, |v128|, |v129|, v22                        // 0000000083D4: D1D30316 045B0380
	v_max3_f32 v22, |v130|, |v131|, v22                        // 0000000083DC: D1D30316 045B0782
	v_max3_f32 v23, |v132|, |v133|, v23                        // 0000000083E4: D1D30317 045F0B84
	v_max3_f32 v23, |v134|, |v135|, v23                        // 0000000083EC: D1D30317 045F0F86
	v_max3_f32 v22, |v136|, |v137|, v22                        // 0000000083F4: D1D30316 045B1388
	v_max3_f32 v22, |v138|, |v139|, v22                        // 0000000083FC: D1D30316 045B178A
	v_max3_f32 v23, |v140|, |v141|, v23                        // 000000008404: D1D30317 045F1B8C
	v_max3_f32 v23, |v142|, |v143|, v23                        // 00000000840C: D1D30317 045F1F8E
	v_max3_f32 v22, |v144|, |v145|, v22                        // 000000008414: D1D30316 045B2390
	v_max3_f32 v22, |v146|, |v147|, v22                        // 00000000841C: D1D30316 045B2792
	v_max3_f32 v23, |v148|, |v149|, v23                        // 000000008424: D1D30317 045F2B94
	v_max3_f32 v23, |v150|, |v151|, v23                        // 00000000842C: D1D30317 045F2F96
	v_max3_f32 v22, |v152|, |v153|, v22                        // 000000008434: D1D30316 045B3398
	v_max3_f32 v22, |v154|, |v155|, v22                        // 00000000843C: D1D30316 045B379A
	v_max3_f32 v23, |v156|, |v157|, v23                        // 000000008444: D1D30317 045F3B9C
	v_max3_f32 v23, |v158|, |v159|, v23                        // 00000000844C: D1D30317 045F3F9E
	v_max3_f32 v22, |v160|, |v161|, v22                        // 000000008454: D1D30316 045B43A0
	v_max3_f32 v22, |v162|, |v163|, v22                        // 00000000845C: D1D30316 045B47A2
	v_max3_f32 v23, |v164|, |v165|, v23                        // 000000008464: D1D30317 045F4BA4
	v_max3_f32 v23, |v166|, |v167|, v23                        // 00000000846C: D1D30317 045F4FA6
	v_max3_f32 v22, |v168|, |v169|, v22                        // 000000008474: D1D30316 045B53A8
	v_max3_f32 v22, |v170|, |v171|, v22                        // 00000000847C: D1D30316 045B57AA
	v_max3_f32 v23, |v172|, |v173|, v23                        // 000000008484: D1D30317 045F5BAC
	v_max3_f32 v23, |v174|, |v175|, v23                        // 00000000848C: D1D30317 045F5FAE
	v_max3_f32 v22, |v176|, |v177|, v22                        // 000000008494: D1D30316 045B63B0
	v_max3_f32 v22, |v178|, |v179|, v22                        // 00000000849C: D1D30316 045B67B2
	v_max3_f32 v23, |v180|, |v181|, v23                        // 0000000084A4: D1D30317 045F6BB4
	v_max3_f32 v23, |v182|, |v183|, v23                        // 0000000084AC: D1D30317 045F6FB6
	v_lshlrev_b32_e32 v50, 3, v0                               // 0000000084B4: 24640083
	s_mul_i32 s60, 0x200, s7                                   // 0000000084B8: 923C07FF 00000200
	v_add_u32_e32 v50, s60, v50                                // 0000000084C0: 6864643C
	ds_write_b64 v50, v[22:23] offset:16640                    // 0000000084C4: D89A4100 00001632
	s_waitcnt lgkmcnt(0)                                       // 0000000084CC: BF8CC07F
	s_barrier                                                  // 0000000084D0: BF8A0000
	v_and_b32_e32 v50, 15, v0                                  // 0000000084D4: 2664008F
	v_lshlrev_b32_e32 v50, 3, v50                              // 0000000084D8: 24646483
	ds_read_b64 v[96:97], v50 offset:16640                     // 0000000084DC: D8EC4100 60000032
	ds_read_b64 v[98:99], v50 offset:16768                     // 0000000084E4: D8EC4180 62000032
	ds_read_b64 v[100:101], v50 offset:16896                   // 0000000084EC: D8EC4200 64000032
	ds_read_b64 v[102:103], v50 offset:17024                   // 0000000084F4: D8EC4280 66000032
	ds_read_b64 v[104:105], v50 offset:17152                   // 0000000084FC: D8EC4300 68000032
	ds_read_b64 v[106:107], v50 offset:17280                   // 000000008504: D8EC4380 6A000032
	ds_read_b64 v[108:109], v50 offset:17408                   // 00000000850C: D8EC4400 6C000032
	ds_read_b64 v[110:111], v50 offset:17536                   // 000000008514: D8EC4480 6E000032
	ds_read_b64 v[112:113], v50 offset:17664                   // 00000000851C: D8EC4500 70000032
	ds_read_b64 v[114:115], v50 offset:17792                   // 000000008524: D8EC4580 72000032
	ds_read_b64 v[116:117], v50 offset:17920                   // 00000000852C: D8EC4600 74000032
	ds_read_b64 v[118:119], v50 offset:18048                   // 000000008534: D8EC4680 76000032
	ds_read_b64 v[120:121], v50 offset:18176                   // 00000000853C: D8EC4700 78000032
	ds_read_b64 v[122:123], v50 offset:18304                   // 000000008544: D8EC4780 7A000032
	ds_read_b64 v[124:125], v50 offset:18432                   // 00000000854C: D8EC4800 7C000032
	ds_read_b64 v[126:127], v50 offset:18560                   // 000000008554: D8EC4880 7E000032
	s_waitcnt lgkmcnt(0)                                       // 00000000855C: BF8CC07F
	v_max3_f32 v22, |v96|, |v98|, v22                          // 000000008560: D1D30316 045AC560
	v_max3_f32 v23, |v97|, |v99|, v23                          // 000000008568: D1D30317 045EC761
	v_max3_f32 v22, |v100|, |v102|, v22                        // 000000008570: D1D30316 045ACD64
	v_max3_f32 v23, |v101|, |v103|, v23                        // 000000008578: D1D30317 045ECF65
	v_max3_f32 v22, |v104|, |v106|, v22                        // 000000008580: D1D30316 045AD568
	v_max3_f32 v23, |v105|, |v107|, v23                        // 000000008588: D1D30317 045ED769
	v_max3_f32 v22, |v108|, |v110|, v22                        // 000000008590: D1D30316 045ADD6C
	v_max3_f32 v23, |v109|, |v111|, v23                        // 000000008598: D1D30317 045EDF6D
	v_max3_f32 v22, |v112|, |v114|, v22                        // 0000000085A0: D1D30316 045AE570
	v_max3_f32 v23, |v113|, |v115|, v23                        // 0000000085A8: D1D30317 045EE771
	v_max3_f32 v22, |v116|, |v118|, v22                        // 0000000085B0: D1D30316 045AED74
	v_max3_f32 v23, |v117|, |v119|, v23                        // 0000000085B8: D1D30317 045EEF75
	v_max3_f32 v22, |v120|, |v122|, v22                        // 0000000085C0: D1D30316 045AF578
	v_max3_f32 v23, |v121|, |v123|, v23                        // 0000000085C8: D1D30317 045EF779
	v_max3_f32 v22, |v124|, |v126|, v22                        // 0000000085D0: D1D30316 045AFD7C
	v_max3_f32 v23, |v125|, |v127|, v23                        // 0000000085D8: D1D30317 045EFF7D
	v_rcp_f32_e32 v22, v22                                     // 0000000085E0: 7E2C4516
	v_rcp_f32_e32 v23, v23                                     // 0000000085E4: 7E2E4517
	v_mul_f32_e32 v22, 0x42fe0000, v22                         // 0000000085E8: 0A2C2CFF 42FE0000
	v_mul_f32_e32 v23, 0x42fe0000, v23                         // 0000000085F0: 0A2E2EFF 42FE0000
	v_mul_f32_e32 v128, v22, v128                              // 0000000085F8: 0B010116
	v_mul_f32_e32 v129, v22, v129                              // 0000000085FC: 0B030316
	v_mul_f32_e32 v130, v22, v130                              // 000000008600: 0B050516
	v_mul_f32_e32 v131, v22, v131                              // 000000008604: 0B070716
	v_cvt_i32_f32_e32 v128, v128                               // 000000008608: 7F001180
	v_cvt_i32_f32_e32 v129, v129                               // 00000000860C: 7F021181
	v_cvt_i32_f32_e32 v130, v130                               // 000000008610: 7F041182
	v_cvt_i32_f32_e32 v131, v131                               // 000000008614: 7F061183
	v_perm_b32 v128, v129, v128, s53                           // 000000008618: D1ED0080 00D70181
	v_perm_b32 v128, v130, v128, s54                           // 000000008620: D1ED0080 00DB0182
	v_perm_b32 v128, v131, v128, s55                           // 000000008628: D1ED0080 00DF0183
	v_mul_f32_e32 v132, v23, v132                              // 000000008630: 0B090917
	v_mul_f32_e32 v133, v23, v133                              // 000000008634: 0B0B0B17
	v_mul_f32_e32 v134, v23, v134                              // 000000008638: 0B0D0D17
	v_mul_f32_e32 v135, v23, v135                              // 00000000863C: 0B0F0F17
	v_cvt_i32_f32_e32 v132, v132                               // 000000008640: 7F081184
	v_cvt_i32_f32_e32 v133, v133                               // 000000008644: 7F0A1185
	v_cvt_i32_f32_e32 v134, v134                               // 000000008648: 7F0C1186
	v_cvt_i32_f32_e32 v135, v135                               // 00000000864C: 7F0E1187
	v_perm_b32 v129, v133, v132, s53                           // 000000008650: D1ED0081 00D70985
	v_perm_b32 v129, v134, v129, s54                           // 000000008658: D1ED0081 00DB0386
	v_perm_b32 v129, v135, v129, s55                           // 000000008660: D1ED0081 00DF0387
	v_mul_f32_e32 v136, v22, v136                              // 000000008668: 0B111116
	v_mul_f32_e32 v137, v22, v137                              // 00000000866C: 0B131316
	v_mul_f32_e32 v138, v22, v138                              // 000000008670: 0B151516
	v_mul_f32_e32 v139, v22, v139                              // 000000008674: 0B171716
	v_cvt_i32_f32_e32 v136, v136                               // 000000008678: 7F101188
	v_cvt_i32_f32_e32 v137, v137                               // 00000000867C: 7F121189
	v_cvt_i32_f32_e32 v138, v138                               // 000000008680: 7F14118A
	v_cvt_i32_f32_e32 v139, v139                               // 000000008684: 7F16118B
	v_perm_b32 v130, v137, v136, s53                           // 000000008688: D1ED0082 00D71189
	v_perm_b32 v130, v138, v130, s54                           // 000000008690: D1ED0082 00DB058A
	v_perm_b32 v130, v139, v130, s55                           // 000000008698: D1ED0082 00DF058B
	v_mul_f32_e32 v140, v23, v140                              // 0000000086A0: 0B191917
	v_mul_f32_e32 v141, v23, v141                              // 0000000086A4: 0B1B1B17
	v_mul_f32_e32 v142, v23, v142                              // 0000000086A8: 0B1D1D17
	v_mul_f32_e32 v143, v23, v143                              // 0000000086AC: 0B1F1F17
	v_cvt_i32_f32_e32 v140, v140                               // 0000000086B0: 7F18118C
	v_cvt_i32_f32_e32 v141, v141                               // 0000000086B4: 7F1A118D
	v_cvt_i32_f32_e32 v142, v142                               // 0000000086B8: 7F1C118E
	v_cvt_i32_f32_e32 v143, v143                               // 0000000086BC: 7F1E118F
	v_perm_b32 v131, v141, v140, s53                           // 0000000086C0: D1ED0083 00D7198D
	v_perm_b32 v131, v142, v131, s54                           // 0000000086C8: D1ED0083 00DB078E
	v_perm_b32 v131, v143, v131, s55                           // 0000000086D0: D1ED0083 00DF078F
	v_mul_f32_e32 v144, v22, v144                              // 0000000086D8: 0B212116
	v_mul_f32_e32 v145, v22, v145                              // 0000000086DC: 0B232316
	v_mul_f32_e32 v146, v22, v146                              // 0000000086E0: 0B252516
	v_mul_f32_e32 v147, v22, v147                              // 0000000086E4: 0B272716
	v_cvt_i32_f32_e32 v144, v144                               // 0000000086E8: 7F201190
	v_cvt_i32_f32_e32 v145, v145                               // 0000000086EC: 7F221191
	v_cvt_i32_f32_e32 v146, v146                               // 0000000086F0: 7F241192
	v_cvt_i32_f32_e32 v147, v147                               // 0000000086F4: 7F261193
	v_perm_b32 v132, v145, v144, s53                           // 0000000086F8: D1ED0084 00D72191
	v_perm_b32 v132, v146, v132, s54                           // 000000008700: D1ED0084 00DB0992
	v_perm_b32 v132, v147, v132, s55                           // 000000008708: D1ED0084 00DF0993
	v_mul_f32_e32 v148, v23, v148                              // 000000008710: 0B292917
	v_mul_f32_e32 v149, v23, v149                              // 000000008714: 0B2B2B17
	v_mul_f32_e32 v150, v23, v150                              // 000000008718: 0B2D2D17
	v_mul_f32_e32 v151, v23, v151                              // 00000000871C: 0B2F2F17
	v_cvt_i32_f32_e32 v148, v148                               // 000000008720: 7F281194
	v_cvt_i32_f32_e32 v149, v149                               // 000000008724: 7F2A1195
	v_cvt_i32_f32_e32 v150, v150                               // 000000008728: 7F2C1196
	v_cvt_i32_f32_e32 v151, v151                               // 00000000872C: 7F2E1197
	v_perm_b32 v133, v149, v148, s53                           // 000000008730: D1ED0085 00D72995
	v_perm_b32 v133, v150, v133, s54                           // 000000008738: D1ED0085 00DB0B96
	v_perm_b32 v133, v151, v133, s55                           // 000000008740: D1ED0085 00DF0B97
	v_mul_f32_e32 v152, v22, v152                              // 000000008748: 0B313116
	v_mul_f32_e32 v153, v22, v153                              // 00000000874C: 0B333316
	v_mul_f32_e32 v154, v22, v154                              // 000000008750: 0B353516
	v_mul_f32_e32 v155, v22, v155                              // 000000008754: 0B373716
	v_cvt_i32_f32_e32 v152, v152                               // 000000008758: 7F301198
	v_cvt_i32_f32_e32 v153, v153                               // 00000000875C: 7F321199
	v_cvt_i32_f32_e32 v154, v154                               // 000000008760: 7F34119A
	v_cvt_i32_f32_e32 v155, v155                               // 000000008764: 7F36119B
	v_perm_b32 v134, v153, v152, s53                           // 000000008768: D1ED0086 00D73199
	v_perm_b32 v134, v154, v134, s54                           // 000000008770: D1ED0086 00DB0D9A
	v_perm_b32 v134, v155, v134, s55                           // 000000008778: D1ED0086 00DF0D9B
	v_mul_f32_e32 v156, v23, v156                              // 000000008780: 0B393917
	v_mul_f32_e32 v157, v23, v157                              // 000000008784: 0B3B3B17
	v_mul_f32_e32 v158, v23, v158                              // 000000008788: 0B3D3D17
	v_mul_f32_e32 v159, v23, v159                              // 00000000878C: 0B3F3F17
	v_cvt_i32_f32_e32 v156, v156                               // 000000008790: 7F38119C
	v_cvt_i32_f32_e32 v157, v157                               // 000000008794: 7F3A119D
	v_cvt_i32_f32_e32 v158, v158                               // 000000008798: 7F3C119E
	v_cvt_i32_f32_e32 v159, v159                               // 00000000879C: 7F3E119F
	v_perm_b32 v135, v157, v156, s53                           // 0000000087A0: D1ED0087 00D7399D
	v_perm_b32 v135, v158, v135, s54                           // 0000000087A8: D1ED0087 00DB0F9E
	v_perm_b32 v135, v159, v135, s55                           // 0000000087B0: D1ED0087 00DF0F9F
	v_mul_f32_e32 v160, v22, v160                              // 0000000087B8: 0B414116
	v_mul_f32_e32 v161, v22, v161                              // 0000000087BC: 0B434316
	v_mul_f32_e32 v162, v22, v162                              // 0000000087C0: 0B454516
	v_mul_f32_e32 v163, v22, v163                              // 0000000087C4: 0B474716
	v_cvt_i32_f32_e32 v160, v160                               // 0000000087C8: 7F4011A0
	v_cvt_i32_f32_e32 v161, v161                               // 0000000087CC: 7F4211A1
	v_cvt_i32_f32_e32 v162, v162                               // 0000000087D0: 7F4411A2
	v_cvt_i32_f32_e32 v163, v163                               // 0000000087D4: 7F4611A3
	v_perm_b32 v136, v161, v160, s53                           // 0000000087D8: D1ED0088 00D741A1
	v_perm_b32 v136, v162, v136, s54                           // 0000000087E0: D1ED0088 00DB11A2
	v_perm_b32 v136, v163, v136, s55                           // 0000000087E8: D1ED0088 00DF11A3
	v_mul_f32_e32 v164, v23, v164                              // 0000000087F0: 0B494917
	v_mul_f32_e32 v165, v23, v165                              // 0000000087F4: 0B4B4B17
	v_mul_f32_e32 v166, v23, v166                              // 0000000087F8: 0B4D4D17
	v_mul_f32_e32 v167, v23, v167                              // 0000000087FC: 0B4F4F17
	v_cvt_i32_f32_e32 v164, v164                               // 000000008800: 7F4811A4
	v_cvt_i32_f32_e32 v165, v165                               // 000000008804: 7F4A11A5
	v_cvt_i32_f32_e32 v166, v166                               // 000000008808: 7F4C11A6
	v_cvt_i32_f32_e32 v167, v167                               // 00000000880C: 7F4E11A7
	v_perm_b32 v137, v165, v164, s53                           // 000000008810: D1ED0089 00D749A5
	v_perm_b32 v137, v166, v137, s54                           // 000000008818: D1ED0089 00DB13A6
	v_perm_b32 v137, v167, v137, s55                           // 000000008820: D1ED0089 00DF13A7
	v_mul_f32_e32 v168, v22, v168                              // 000000008828: 0B515116
	v_mul_f32_e32 v169, v22, v169                              // 00000000882C: 0B535316
	v_mul_f32_e32 v170, v22, v170                              // 000000008830: 0B555516
	v_mul_f32_e32 v171, v22, v171                              // 000000008834: 0B575716
	v_cvt_i32_f32_e32 v168, v168                               // 000000008838: 7F5011A8
	v_cvt_i32_f32_e32 v169, v169                               // 00000000883C: 7F5211A9
	v_cvt_i32_f32_e32 v170, v170                               // 000000008840: 7F5411AA
	v_cvt_i32_f32_e32 v171, v171                               // 000000008844: 7F5611AB
	v_perm_b32 v138, v169, v168, s53                           // 000000008848: D1ED008A 00D751A9
	v_perm_b32 v138, v170, v138, s54                           // 000000008850: D1ED008A 00DB15AA
	v_perm_b32 v138, v171, v138, s55                           // 000000008858: D1ED008A 00DF15AB
	v_mul_f32_e32 v172, v23, v172                              // 000000008860: 0B595917
	v_mul_f32_e32 v173, v23, v173                              // 000000008864: 0B5B5B17
	v_mul_f32_e32 v174, v23, v174                              // 000000008868: 0B5D5D17
	v_mul_f32_e32 v175, v23, v175                              // 00000000886C: 0B5F5F17
	v_cvt_i32_f32_e32 v172, v172                               // 000000008870: 7F5811AC
	v_cvt_i32_f32_e32 v173, v173                               // 000000008874: 7F5A11AD
	v_cvt_i32_f32_e32 v174, v174                               // 000000008878: 7F5C11AE
	v_cvt_i32_f32_e32 v175, v175                               // 00000000887C: 7F5E11AF
	v_perm_b32 v139, v173, v172, s53                           // 000000008880: D1ED008B 00D759AD
	v_perm_b32 v139, v174, v139, s54                           // 000000008888: D1ED008B 00DB17AE
	v_perm_b32 v139, v175, v139, s55                           // 000000008890: D1ED008B 00DF17AF
	v_mul_f32_e32 v176, v22, v176                              // 000000008898: 0B616116
	v_mul_f32_e32 v177, v22, v177                              // 00000000889C: 0B636316
	v_mul_f32_e32 v178, v22, v178                              // 0000000088A0: 0B656516
	v_mul_f32_e32 v179, v22, v179                              // 0000000088A4: 0B676716
	v_cvt_i32_f32_e32 v176, v176                               // 0000000088A8: 7F6011B0
	v_cvt_i32_f32_e32 v177, v177                               // 0000000088AC: 7F6211B1
	v_cvt_i32_f32_e32 v178, v178                               // 0000000088B0: 7F6411B2
	v_cvt_i32_f32_e32 v179, v179                               // 0000000088B4: 7F6611B3
	v_perm_b32 v140, v177, v176, s53                           // 0000000088B8: D1ED008C 00D761B1
	v_perm_b32 v140, v178, v140, s54                           // 0000000088C0: D1ED008C 00DB19B2
	v_perm_b32 v140, v179, v140, s55                           // 0000000088C8: D1ED008C 00DF19B3
	v_mul_f32_e32 v180, v23, v180                              // 0000000088D0: 0B696917
	v_mul_f32_e32 v181, v23, v181                              // 0000000088D4: 0B6B6B17
	v_mul_f32_e32 v182, v23, v182                              // 0000000088D8: 0B6D6D17
	v_mul_f32_e32 v183, v23, v183                              // 0000000088DC: 0B6F6F17
	v_cvt_i32_f32_e32 v180, v180                               // 0000000088E0: 7F6811B4
	v_cvt_i32_f32_e32 v181, v181                               // 0000000088E4: 7F6A11B5
	v_cvt_i32_f32_e32 v182, v182                               // 0000000088E8: 7F6C11B6
	v_cvt_i32_f32_e32 v183, v183                               // 0000000088EC: 7F6E11B7
	v_perm_b32 v141, v181, v180, s53                           // 0000000088F0: D1ED008D 00D769B5
	v_perm_b32 v141, v182, v141, s54                           // 0000000088F8: D1ED008D 00DB1BB6
	v_perm_b32 v141, v183, v141, s55                           // 000000008900: D1ED008D 00DF1BB7
	v_rcp_f32_e32 v24, v22                                     // 000000008908: 7E304516
	v_rcp_f32_e32 v25, v23                                     // 00000000890C: 7E324517
	v_lshrrev_b32_e32 v50, 5, v0                               // 000000008910: 20640085
	v_lshlrev_b32_e32 v51, 5, v50                              // 000000008914: 24666485
	v_and_b32_e32 v50, 31, v0                                  // 000000008918: 2664009F
	v_lshrrev_b32_e32 v52, 4, v50                              // 00000000891C: 20686484
	v_add_u32_e32 v51, v52, v51                                // 000000008920: 68666734
	v_and_b32_e32 v50, 15, v0                                  // 000000008924: 2664008F
	v_lshlrev_b32_e32 v50, 1, v50                              // 000000008928: 24646481
	v_add_u32_e32 v51, v50, v51                                // 00000000892C: 68666732
	v_lshlrev_b32_e32 v50, 2, v51                              // 000000008930: 24646682
	s_mul_i32 s60, 0x100, s7                                   // 000000008934: 923C07FF 00000100
	v_add_u32_e64 v50, v50, s60                                // 00000000893C: D1340032 00007932
	ds_write_b32 v50, v128 offset:18688                        // 000000008944: D81A4900 00008032
	ds_write_b32 v50, v129 offset:25856                        // 00000000894C: D81A6500 00008132
	ds_write_b32 v50, v130 offset:19712                        // 000000008954: D81A4D00 00008232
	ds_write_b32 v50, v131 offset:26880                        // 00000000895C: D81A6900 00008332
	ds_write_b32 v50, v132 offset:20736                        // 000000008964: D81A5100 00008432
	ds_write_b32 v50, v133 offset:27904                        // 00000000896C: D81A6D00 00008532
	ds_write_b32 v50, v134 offset:21760                        // 000000008974: D81A5500 00008632
	ds_write_b32 v50, v135 offset:28928                        // 00000000897C: D81A7100 00008732
	ds_write_b32 v50, v136 offset:22784                        // 000000008984: D81A5900 00008832
	ds_write_b32 v50, v137 offset:29952                        // 00000000898C: D81A7500 00008932
	ds_write_b32 v50, v138 offset:23808                        // 000000008994: D81A5D00 00008A32
	ds_write_b32 v50, v139 offset:30976                        // 00000000899C: D81A7900 00008B32
	ds_write_b32 v50, v140 offset:24832                        // 0000000089A4: D81A6100 00008C32
	ds_write_b32 v50, v141 offset:32000                        // 0000000089AC: D81A7D00 00008D32
	s_waitcnt lgkmcnt(0)                                       // 0000000089B4: BF8CC07F
	s_barrier                                                  // 0000000089B8: BF8A0000
	v_lshrrev_b32_e32 v50, 4, v0                               // 0000000089BC: 20640084
	v_lshlrev_b32_e32 v51, 6, v50                              // 0000000089C0: 24666486
	v_and_b32_e32 v50, 15, v0                                  // 0000000089C4: 2664008F
	v_lshlrev_b32_e32 v50, 1, v50                              // 0000000089C8: 24646481
	v_add_u32_e32 v51, v50, v51                                // 0000000089CC: 68666732
	v_lshlrev_b32_e32 v50, 2, v51                              // 0000000089D0: 24646682
	ds_read_b64 v[128:129], v50 offset:18688                   // 0000000089D4: D8EC4900 80000032
	ds_read_b64 v[130:131], v50 offset:18816                   // 0000000089DC: D8EC4980 82000032
	ds_read_b64 v[132:133], v50 offset:19712                   // 0000000089E4: D8EC4D00 84000032
	ds_read_b64 v[134:135], v50 offset:19840                   // 0000000089EC: D8EC4D80 86000032
	ds_read_b64 v[136:137], v50 offset:20736                   // 0000000089F4: D8EC5100 88000032
	ds_read_b64 v[138:139], v50 offset:20864                   // 0000000089FC: D8EC5180 8A000032
	ds_read_b64 v[140:141], v50 offset:21760                   // 000000008A04: D8EC5500 8C000032
	ds_read_b64 v[142:143], v50 offset:21888                   // 000000008A0C: D8EC5580 8E000032
	ds_read_b64 v[144:145], v50 offset:22784                   // 000000008A14: D8EC5900 90000032
	ds_read_b64 v[146:147], v50 offset:22912                   // 000000008A1C: D8EC5980 92000032
	ds_read_b64 v[148:149], v50 offset:23808                   // 000000008A24: D8EC5D00 94000032
	ds_read_b64 v[150:151], v50 offset:23936                   // 000000008A2C: D8EC5D80 96000032
	ds_read_b64 v[152:153], v50 offset:24832                   // 000000008A34: D8EC6100 98000032
	ds_read_b64 v[154:155], v50 offset:24960                   // 000000008A3C: D8EC6180 9A000032
	ds_read_b64 v[156:157], v50 offset:25856                   // 000000008A44: D8EC6500 9C000032
	ds_read_b64 v[158:159], v50 offset:25984                   // 000000008A4C: D8EC6580 9E000032
	ds_read_b64 v[160:161], v50 offset:26880                   // 000000008A54: D8EC6900 A0000032
	ds_read_b64 v[162:163], v50 offset:27008                   // 000000008A5C: D8EC6980 A2000032
	ds_read_b64 v[164:165], v50 offset:27904                   // 000000008A64: D8EC6D00 A4000032
	ds_read_b64 v[166:167], v50 offset:28032                   // 000000008A6C: D8EC6D80 A6000032
	ds_read_b64 v[168:169], v50 offset:28928                   // 000000008A74: D8EC7100 A8000032
	ds_read_b64 v[170:171], v50 offset:29056                   // 000000008A7C: D8EC7180 AA000032
	ds_read_b64 v[172:173], v50 offset:29952                   // 000000008A84: D8EC7500 AC000032
	ds_read_b64 v[174:175], v50 offset:30080                   // 000000008A8C: D8EC7580 AE000032
	ds_read_b64 v[176:177], v50 offset:30976                   // 000000008A94: D8EC7900 B0000032
	ds_read_b64 v[178:179], v50 offset:31104                   // 000000008A9C: D8EC7980 B2000032
	ds_read_b64 v[180:181], v50 offset:32000                   // 000000008AA4: D8EC7D00 B4000032
	ds_read_b64 v[182:183], v50 offset:32128                   // 000000008AAC: D8EC7D80 B6000032
	s_add_u32 s12, s56, s12                                    // 000000008AB4: 800C0C38
	s_addc_u32 s13, 0, s13                                     // 000000008AB8: 820D0D80
	s_add_u32 s16, s79, s16                                    // 000000008ABC: 8010104F
	s_addc_u32 s17, 0, s17                                     // 000000008AC0: 82111180
	s_mov_b32 s80, 0                                           // 000000008AC4: BED00080
	s_waitcnt vmcnt(0) expcnt(0) lgkmcnt(0)                    // 000000008AC8: BF8C0000

0000000000008acc <label_1733>:
	s_waitcnt vmcnt(41)                                        // 000000008ACC: BF8C8F79
	s_barrier                                                  // 000000008AD0: BF8A0000
	v_mfma_i32_16x16x32_i8 v[184:187], a[0:1], v[128:129], 0   // 000000008AD4: D3D700B8 0A030100
	buffer_load_dwordx4 a[112:115], v41, s[12:15], 0 offen     // 000000008ADC: E05C1000 80837029
	v_mfma_i32_16x16x32_i8 v[184:187], a[2:3], v[130:131], v[184:187]// 000000008AE4: D3D700B8 0EE30502
	v_mfma_i32_16x16x32_i8 v[188:191], a[0:1], v[156:157], 0   // 000000008AEC: D3D700BC 0A033900
	v_mfma_i32_16x16x32_i8 v[188:191], a[2:3], v[158:159], v[188:191]// 000000008AF4: D3D700BC 0EF33D02
	v_mfma_i32_16x16x32_i8 v[192:195], a[4:5], v[128:129], 0   // 000000008AFC: D3D700C0 0A030104
	buffer_load_dwordx4 a[116:119], v42, s[12:15], 0 offen     // 000000008B04: E05C1000 8083742A
	v_mfma_i32_16x16x32_i8 v[192:195], a[6:7], v[130:131], v[192:195]// 000000008B0C: D3D700C0 0F030506
	v_mfma_i32_16x16x32_i8 v[196:199], a[4:5], v[156:157], 0   // 000000008B14: D3D700C4 0A033904
	v_mfma_i32_16x16x32_i8 v[196:199], a[6:7], v[158:159], v[196:199]// 000000008B1C: D3D700C4 0F133D06
	v_mfma_i32_16x16x32_i8 v[200:203], a[8:9], v[128:129], 0   // 000000008B24: D3D700C8 0A030108
	buffer_load_dwordx4 a[120:123], v43, s[12:15], 0 offen     // 000000008B2C: E05C1000 8083782B
	v_mfma_i32_16x16x32_i8 v[200:203], a[10:11], v[130:131], v[200:203]// 000000008B34: D3D700C8 0F23050A
	v_mfma_i32_16x16x32_i8 v[204:207], a[8:9], v[156:157], 0   // 000000008B3C: D3D700CC 0A033908
	v_mfma_i32_16x16x32_i8 v[204:207], a[10:11], v[158:159], v[204:207]// 000000008B44: D3D700CC 0F333D0A
	v_mfma_i32_16x16x32_i8 v[208:211], a[12:13], v[128:129], 0 // 000000008B4C: D3D700D0 0A03010C
	buffer_load_dwordx4 a[124:127], v44, s[12:15], 0 offen     // 000000008B54: E05C1000 80837C2C
	s_add_u32 s12, s78, s12                                    // 000000008B5C: 800C0C4E
	s_addc_u32 s13, 0, s13                                     // 000000008B60: 820D0D80
	v_mfma_i32_16x16x32_i8 v[208:211], a[14:15], v[130:131], v[208:211]// 000000008B64: D3D700D0 0F43050E
	v_mfma_i32_16x16x32_i8 v[212:215], a[12:13], v[156:157], 0 // 000000008B6C: D3D700D4 0A03390C
	v_mfma_i32_16x16x32_i8 v[212:215], a[14:15], v[158:159], v[212:215]// 000000008B74: D3D700D4 0F533D0E
	s_waitcnt vmcnt(41)                                        // 000000008B7C: BF8C8F79
	v_mfma_i32_16x16x32_i8 v[184:187], a[16:17], v[132:133], v[184:187]// 000000008B80: D3D700B8 0EE30910
	buffer_load_dwordx4 a[128:131], v41, s[12:15], 0 offen     // 000000008B88: E05C1000 80838029
	v_mfma_i32_16x16x32_i8 v[184:187], a[18:19], v[134:135], v[184:187]// 000000008B90: D3D700B8 0EE30D12
	v_mfma_i32_16x16x32_i8 v[188:191], a[16:17], v[160:161], v[188:191]// 000000008B98: D3D700BC 0EF34110
	v_mfma_i32_16x16x32_i8 v[188:191], a[18:19], v[162:163], v[188:191]// 000000008BA0: D3D700BC 0EF34512
	v_mfma_i32_16x16x32_i8 v[192:195], a[20:21], v[132:133], v[192:195]// 000000008BA8: D3D700C0 0F030914
	buffer_load_dwordx4 a[132:135], v42, s[12:15], 0 offen     // 000000008BB0: E05C1000 8083842A
	v_mfma_i32_16x16x32_i8 v[192:195], a[22:23], v[134:135], v[192:195]// 000000008BB8: D3D700C0 0F030D16
	v_mfma_i32_16x16x32_i8 v[196:199], a[20:21], v[160:161], v[196:199]// 000000008BC0: D3D700C4 0F134114
	v_mfma_i32_16x16x32_i8 v[196:199], a[22:23], v[162:163], v[196:199]// 000000008BC8: D3D700C4 0F134516
	v_mfma_i32_16x16x32_i8 v[200:203], a[24:25], v[132:133], v[200:203]// 000000008BD0: D3D700C8 0F230918
	buffer_load_dwordx4 a[136:139], v43, s[12:15], 0 offen     // 000000008BD8: E05C1000 8083882B
	v_mfma_i32_16x16x32_i8 v[200:203], a[26:27], v[134:135], v[200:203]// 000000008BE0: D3D700C8 0F230D1A
	v_mfma_i32_16x16x32_i8 v[204:207], a[24:25], v[160:161], v[204:207]// 000000008BE8: D3D700CC 0F334118
	v_mfma_i32_16x16x32_i8 v[204:207], a[26:27], v[162:163], v[204:207]// 000000008BF0: D3D700CC 0F33451A
	v_mfma_i32_16x16x32_i8 v[208:211], a[28:29], v[132:133], v[208:211]// 000000008BF8: D3D700D0 0F43091C
	buffer_load_dwordx4 a[140:143], v44, s[12:15], 0 offen     // 000000008C00: E05C1000 80838C2C
	s_add_u32 s12, s78, s12                                    // 000000008C08: 800C0C4E
	s_addc_u32 s13, 0, s13                                     // 000000008C0C: 820D0D80
	v_mfma_i32_16x16x32_i8 v[208:211], a[30:31], v[134:135], v[208:211]// 000000008C10: D3D700D0 0F430D1E
	v_mfma_i32_16x16x32_i8 v[212:215], a[28:29], v[160:161], v[212:215]// 000000008C18: D3D700D4 0F53411C
	v_mfma_i32_16x16x32_i8 v[212:215], a[30:31], v[162:163], v[212:215]// 000000008C20: D3D700D4 0F53451E
	s_waitcnt vmcnt(41)                                        // 000000008C28: BF8C8F79
	v_mfma_i32_16x16x32_i8 v[184:187], a[32:33], v[136:137], v[184:187]// 000000008C2C: D3D700B8 0EE31120
	buffer_load_dwordx4 a[144:147], v41, s[12:15], 0 offen     // 000000008C34: E05C1000 80839029
	v_mfma_i32_16x16x32_i8 v[184:187], a[34:35], v[138:139], v[184:187]// 000000008C3C: D3D700B8 0EE31522
	v_mfma_i32_16x16x32_i8 v[188:191], a[32:33], v[164:165], v[188:191]// 000000008C44: D3D700BC 0EF34920
	v_mfma_i32_16x16x32_i8 v[188:191], a[34:35], v[166:167], v[188:191]// 000000008C4C: D3D700BC 0EF34D22
	v_mfma_i32_16x16x32_i8 v[192:195], a[36:37], v[136:137], v[192:195]// 000000008C54: D3D700C0 0F031124
	buffer_load_dwordx4 a[148:151], v42, s[12:15], 0 offen     // 000000008C5C: E05C1000 8083942A
	v_mfma_i32_16x16x32_i8 v[192:195], a[38:39], v[138:139], v[192:195]// 000000008C64: D3D700C0 0F031526
	v_mfma_i32_16x16x32_i8 v[196:199], a[36:37], v[164:165], v[196:199]// 000000008C6C: D3D700C4 0F134924
	v_mfma_i32_16x16x32_i8 v[196:199], a[38:39], v[166:167], v[196:199]// 000000008C74: D3D700C4 0F134D26
	v_mfma_i32_16x16x32_i8 v[200:203], a[40:41], v[136:137], v[200:203]// 000000008C7C: D3D700C8 0F231128
	buffer_load_dwordx4 a[152:155], v43, s[12:15], 0 offen     // 000000008C84: E05C1000 8083982B
	v_mfma_i32_16x16x32_i8 v[200:203], a[42:43], v[138:139], v[200:203]// 000000008C8C: D3D700C8 0F23152A
	v_mfma_i32_16x16x32_i8 v[204:207], a[40:41], v[164:165], v[204:207]// 000000008C94: D3D700CC 0F334928
	v_mfma_i32_16x16x32_i8 v[204:207], a[42:43], v[166:167], v[204:207]// 000000008C9C: D3D700CC 0F334D2A
	v_mfma_i32_16x16x32_i8 v[208:211], a[44:45], v[136:137], v[208:211]// 000000008CA4: D3D700D0 0F43112C
	buffer_load_dwordx4 a[156:159], v44, s[12:15], 0 offen     // 000000008CAC: E05C1000 80839C2C
	s_add_u32 s12, s78, s12                                    // 000000008CB4: 800C0C4E
	s_addc_u32 s13, 0, s13                                     // 000000008CB8: 820D0D80
	v_mfma_i32_16x16x32_i8 v[208:211], a[46:47], v[138:139], v[208:211]// 000000008CBC: D3D700D0 0F43152E
	v_mfma_i32_16x16x32_i8 v[212:215], a[44:45], v[164:165], v[212:215]// 000000008CC4: D3D700D4 0F53492C
	v_mfma_i32_16x16x32_i8 v[212:215], a[46:47], v[166:167], v[212:215]// 000000008CCC: D3D700D4 0F534D2E
	s_waitcnt vmcnt(41)                                        // 000000008CD4: BF8C8F79
	v_mfma_i32_16x16x32_i8 v[184:187], a[48:49], v[140:141], v[184:187]// 000000008CD8: D3D700B8 0EE31930
	buffer_load_dwordx4 a[160:163], v41, s[12:15], 0 offen     // 000000008CE0: E05C1000 8083A029
	v_mfma_i32_16x16x32_i8 v[184:187], a[50:51], v[142:143], v[184:187]// 000000008CE8: D3D700B8 0EE31D32
	v_mfma_i32_16x16x32_i8 v[188:191], a[48:49], v[168:169], v[188:191]// 000000008CF0: D3D700BC 0EF35130
	v_mfma_i32_16x16x32_i8 v[188:191], a[50:51], v[170:171], v[188:191]// 000000008CF8: D3D700BC 0EF35532
	v_mfma_i32_16x16x32_i8 v[192:195], a[52:53], v[140:141], v[192:195]// 000000008D00: D3D700C0 0F031934
	buffer_load_dwordx4 a[164:167], v42, s[12:15], 0 offen     // 000000008D08: E05C1000 8083A42A
	v_mfma_i32_16x16x32_i8 v[192:195], a[54:55], v[142:143], v[192:195]// 000000008D10: D3D700C0 0F031D36
	v_mfma_i32_16x16x32_i8 v[196:199], a[52:53], v[168:169], v[196:199]// 000000008D18: D3D700C4 0F135134
	v_mfma_i32_16x16x32_i8 v[196:199], a[54:55], v[170:171], v[196:199]// 000000008D20: D3D700C4 0F135536
	v_mfma_i32_16x16x32_i8 v[200:203], a[56:57], v[140:141], v[200:203]// 000000008D28: D3D700C8 0F231938
	buffer_load_dwordx4 a[168:171], v43, s[12:15], 0 offen     // 000000008D30: E05C1000 8083A82B
	v_mfma_i32_16x16x32_i8 v[200:203], a[58:59], v[142:143], v[200:203]// 000000008D38: D3D700C8 0F231D3A
	v_mfma_i32_16x16x32_i8 v[204:207], a[56:57], v[168:169], v[204:207]// 000000008D40: D3D700CC 0F335138
	v_mfma_i32_16x16x32_i8 v[204:207], a[58:59], v[170:171], v[204:207]// 000000008D48: D3D700CC 0F33553A
	v_mfma_i32_16x16x32_i8 v[208:211], a[60:61], v[140:141], v[208:211]// 000000008D50: D3D700D0 0F43193C
	buffer_load_dwordx4 a[172:175], v44, s[12:15], 0 offen     // 000000008D58: E05C1000 8083AC2C
	s_add_u32 s12, s78, s12                                    // 000000008D60: 800C0C4E
	s_addc_u32 s13, 0, s13                                     // 000000008D64: 820D0D80
	v_mfma_i32_16x16x32_i8 v[208:211], a[62:63], v[142:143], v[208:211]// 000000008D68: D3D700D0 0F431D3E
	v_mfma_i32_16x16x32_i8 v[212:215], a[60:61], v[168:169], v[212:215]// 000000008D70: D3D700D4 0F53513C
	v_mfma_i32_16x16x32_i8 v[212:215], a[62:63], v[170:171], v[212:215]// 000000008D78: D3D700D4 0F53553E
	s_waitcnt vmcnt(41)                                        // 000000008D80: BF8C8F79
	v_mfma_i32_16x16x32_i8 v[184:187], a[64:65], v[144:145], v[184:187]// 000000008D84: D3D700B8 0EE32140
	buffer_load_dwordx4 a[176:179], v41, s[12:15], 0 offen     // 000000008D8C: E05C1000 8083B029
	v_mfma_i32_16x16x32_i8 v[184:187], a[66:67], v[146:147], v[184:187]// 000000008D94: D3D700B8 0EE32542
	v_mfma_i32_16x16x32_i8 v[188:191], a[64:65], v[172:173], v[188:191]// 000000008D9C: D3D700BC 0EF35940
	v_mfma_i32_16x16x32_i8 v[188:191], a[66:67], v[174:175], v[188:191]// 000000008DA4: D3D700BC 0EF35D42
	v_mfma_i32_16x16x32_i8 v[192:195], a[68:69], v[144:145], v[192:195]// 000000008DAC: D3D700C0 0F032144
	buffer_load_dwordx4 a[180:183], v42, s[12:15], 0 offen     // 000000008DB4: E05C1000 8083B42A
	v_mfma_i32_16x16x32_i8 v[192:195], a[70:71], v[146:147], v[192:195]// 000000008DBC: D3D700C0 0F032546
	v_mfma_i32_16x16x32_i8 v[196:199], a[68:69], v[172:173], v[196:199]// 000000008DC4: D3D700C4 0F135944
	v_mfma_i32_16x16x32_i8 v[196:199], a[70:71], v[174:175], v[196:199]// 000000008DCC: D3D700C4 0F135D46
	v_mfma_i32_16x16x32_i8 v[200:203], a[72:73], v[144:145], v[200:203]// 000000008DD4: D3D700C8 0F232148
	buffer_load_dwordx4 a[184:187], v43, s[12:15], 0 offen     // 000000008DDC: E05C1000 8083B82B
	v_mfma_i32_16x16x32_i8 v[200:203], a[74:75], v[146:147], v[200:203]// 000000008DE4: D3D700C8 0F23254A
	v_mfma_i32_16x16x32_i8 v[204:207], a[72:73], v[172:173], v[204:207]// 000000008DEC: D3D700CC 0F335948
	v_mfma_i32_16x16x32_i8 v[204:207], a[74:75], v[174:175], v[204:207]// 000000008DF4: D3D700CC 0F335D4A
	v_mfma_i32_16x16x32_i8 v[208:211], a[76:77], v[144:145], v[208:211]// 000000008DFC: D3D700D0 0F43214C
	buffer_load_dwordx4 a[188:191], v44, s[12:15], 0 offen     // 000000008E04: E05C1000 8083BC2C
	s_add_u32 s12, s78, s12                                    // 000000008E0C: 800C0C4E
	s_addc_u32 s13, 0, s13                                     // 000000008E10: 820D0D80
	v_mfma_i32_16x16x32_i8 v[208:211], a[78:79], v[146:147], v[208:211]// 000000008E14: D3D700D0 0F43254E
	v_mfma_i32_16x16x32_i8 v[212:215], a[76:77], v[172:173], v[212:215]// 000000008E1C: D3D700D4 0F53594C
	v_mfma_i32_16x16x32_i8 v[212:215], a[78:79], v[174:175], v[212:215]// 000000008E24: D3D700D4 0F535D4E
	s_waitcnt vmcnt(41)                                        // 000000008E2C: BF8C8F79
	v_mfma_i32_16x16x32_i8 v[184:187], a[80:81], v[148:149], v[184:187]// 000000008E30: D3D700B8 0EE32950
	buffer_load_dwordx4 a[192:195], v41, s[12:15], 0 offen     // 000000008E38: E05C1000 8083C029
	v_mfma_i32_16x16x32_i8 v[184:187], a[82:83], v[150:151], v[184:187]// 000000008E40: D3D700B8 0EE32D52
	v_mfma_i32_16x16x32_i8 v[188:191], a[80:81], v[176:177], v[188:191]// 000000008E48: D3D700BC 0EF36150
	v_mfma_i32_16x16x32_i8 v[188:191], a[82:83], v[178:179], v[188:191]// 000000008E50: D3D700BC 0EF36552
	v_mfma_i32_16x16x32_i8 v[192:195], a[84:85], v[148:149], v[192:195]// 000000008E58: D3D700C0 0F032954
	buffer_load_dwordx4 a[196:199], v42, s[12:15], 0 offen     // 000000008E60: E05C1000 8083C42A
	v_mfma_i32_16x16x32_i8 v[192:195], a[86:87], v[150:151], v[192:195]// 000000008E68: D3D700C0 0F032D56
	v_mfma_i32_16x16x32_i8 v[196:199], a[84:85], v[176:177], v[196:199]// 000000008E70: D3D700C4 0F136154
	v_mfma_i32_16x16x32_i8 v[196:199], a[86:87], v[178:179], v[196:199]// 000000008E78: D3D700C4 0F136556
	v_mfma_i32_16x16x32_i8 v[200:203], a[88:89], v[148:149], v[200:203]// 000000008E80: D3D700C8 0F232958
	buffer_load_dwordx4 a[200:203], v43, s[12:15], 0 offen     // 000000008E88: E05C1000 8083C82B
	v_mfma_i32_16x16x32_i8 v[200:203], a[90:91], v[150:151], v[200:203]// 000000008E90: D3D700C8 0F232D5A
	v_mfma_i32_16x16x32_i8 v[204:207], a[88:89], v[176:177], v[204:207]// 000000008E98: D3D700CC 0F336158
	v_mfma_i32_16x16x32_i8 v[204:207], a[90:91], v[178:179], v[204:207]// 000000008EA0: D3D700CC 0F33655A
	v_mfma_i32_16x16x32_i8 v[208:211], a[92:93], v[148:149], v[208:211]// 000000008EA8: D3D700D0 0F43295C
	buffer_load_dwordx4 a[204:207], v44, s[12:15], 0 offen     // 000000008EB0: E05C1000 8083CC2C
	s_add_u32 s12, s78, s12                                    // 000000008EB8: 800C0C4E
	s_addc_u32 s13, 0, s13                                     // 000000008EBC: 820D0D80
	v_mfma_i32_16x16x32_i8 v[208:211], a[94:95], v[150:151], v[208:211]// 000000008EC0: D3D700D0 0F432D5E
	v_mfma_i32_16x16x32_i8 v[212:215], a[92:93], v[176:177], v[212:215]// 000000008EC8: D3D700D4 0F53615C
	v_mfma_i32_16x16x32_i8 v[212:215], a[94:95], v[178:179], v[212:215]// 000000008ED0: D3D700D4 0F53655E
	s_waitcnt vmcnt(40)                                        // 000000008ED8: BF8C8F78
	v_mfma_i32_16x16x32_i8 v[184:187], a[96:97], v[152:153], v[184:187]// 000000008EDC: D3D700B8 0EE33160
	buffer_load_dwordx4 a[208:211], v41, s[12:15], 0 offen     // 000000008EE4: E05C1000 8083D029
	v_mfma_i32_16x16x32_i8 v[184:187], a[98:99], v[154:155], v[184:187]// 000000008EEC: D3D700B8 0EE33562
	v_mfma_i32_16x16x32_i8 v[188:191], a[96:97], v[180:181], v[188:191]// 000000008EF4: D3D700BC 0EF36960
	buffer_load_dword v13, v5, s[16:19], 0 offen               // 000000008EFC: E0501000 80040D05
	v_mfma_i32_16x16x32_i8 v[188:191], a[98:99], v[182:183], v[188:191]// 000000008F04: D3D700BC 0EF36D62
	v_mfma_i32_16x16x32_i8 v[192:195], a[100:101], v[152:153], v[192:195]// 000000008F0C: D3D700C0 0F033164
	buffer_load_dwordx4 a[212:215], v42, s[12:15], 0 offen     // 000000008F14: E05C1000 8083D42A
	v_mfma_i32_16x16x32_i8 v[192:195], a[102:103], v[154:155], v[192:195]// 000000008F1C: D3D700C0 0F033566
	v_mfma_i32_16x16x32_i8 v[196:199], a[100:101], v[180:181], v[196:199]// 000000008F24: D3D700C4 0F136964
	v_mfma_i32_16x16x32_i8 v[196:199], a[102:103], v[182:183], v[196:199]// 000000008F2C: D3D700C4 0F136D66
	v_mfma_i32_16x16x32_i8 v[200:203], a[104:105], v[152:153], v[200:203]// 000000008F34: D3D700C8 0F233168
	buffer_load_dwordx4 a[216:219], v43, s[12:15], 0 offen     // 000000008F3C: E05C1000 8083D82B
	v_mfma_i32_16x16x32_i8 v[200:203], a[106:107], v[154:155], v[200:203]// 000000008F44: D3D700C8 0F23356A
	v_mfma_i32_16x16x32_i8 v[204:207], a[104:105], v[180:181], v[204:207]// 000000008F4C: D3D700CC 0F336968
	v_mfma_i32_16x16x32_i8 v[204:207], a[106:107], v[182:183], v[204:207]// 000000008F54: D3D700CC 0F336D6A
	v_mfma_i32_16x16x32_i8 v[208:211], a[108:109], v[152:153], v[208:211]// 000000008F5C: D3D700D0 0F43316C
	buffer_load_dwordx4 a[220:223], v44, s[12:15], 0 offen     // 000000008F64: E05C1000 8083DC2C
	v_mfma_i32_16x16x32_i8 v[208:211], a[110:111], v[154:155], v[208:211]// 000000008F6C: D3D700D0 0F43356E
	v_mfma_i32_16x16x32_i8 v[212:215], a[108:109], v[180:181], v[212:215]// 000000008F74: D3D700D4 0F53696C
	v_mfma_i32_16x16x32_i8 v[212:215], a[110:111], v[182:183], v[212:215]// 000000008F7C: D3D700D4 0F536D6E
	s_add_u32 s60, 0x200, s80                                  // 000000008F84: 803C50FF 00000200
	s_cmp_lt_u32 s60, s81                                      // 000000008F8C: BF0A513C
	s_cselect_b32 s56, s56, 0                                  // 000000008F90: 85388038
	s_cselect_b32 s78, s78, 0                                  // 000000008F94: 854E804E
	s_cselect_b32 s79, s79, 0                                  // 000000008F98: 854F804F
	s_add_u32 s12, s56, s12                                    // 000000008F9C: 800C0C38
	s_addc_u32 s13, 0, s13                                     // 000000008FA0: 820D0D80
	s_add_u32 s16, s79, s16                                    // 000000008FA4: 8010104F
	s_addc_u32 s17, 0, s17                                     // 000000008FA8: 82111180
	v_cvt_f32_i32_e32 v184, v184                               // 000000008FAC: 7F700BB8
	v_cvt_f32_i32_e32 v185, v185                               // 000000008FB0: 7F720BB9
	v_cvt_f32_i32_e32 v186, v186                               // 000000008FB4: 7F740BBA
	v_cvt_f32_i32_e32 v187, v187                               // 000000008FB8: 7F760BBB
	v_mul_f32_e32 v184, v24, v184                              // 000000008FBC: 0B717118
	v_mul_f32_e32 v185, v24, v185                              // 000000008FC0: 0B737318
	v_mul_f32_e32 v186, v24, v186                              // 000000008FC4: 0B757518
	v_mul_f32_e32 v187, v24, v187                              // 000000008FC8: 0B777718
	v_mul_f32_dpp v184, v12, v184 row_newbcast:0 row_mask:0xf bank_mask:0xf// 000000008FCC: 0B7170FA FF01500C
	v_mul_f32_dpp v185, v12, v185 row_newbcast:1 row_mask:0xf bank_mask:0xf// 000000008FD4: 0B7372FA FF01510C
	v_mul_f32_dpp v186, v12, v186 row_newbcast:2 row_mask:0xf bank_mask:0xf// 000000008FDC: 0B7574FA FF01520C
	v_mul_f32_dpp v187, v12, v187 row_newbcast:3 row_mask:0xf bank_mask:0xf// 000000008FE4: 0B7776FA FF01530C
	v_mul_f32_e32 v184, v20, v184                              // 000000008FEC: 0B717114
	v_mul_f32_e32 v185, v20, v185                              // 000000008FF0: 0B737314
	v_mul_f32_e32 v186, v20, v186                              // 000000008FF4: 0B757514
	v_mul_f32_e32 v187, v20, v187                              // 000000008FF8: 0B777714
	v_cvt_f32_i32_e32 v188, v188                               // 000000008FFC: 7F780BBC
	v_cvt_f32_i32_e32 v189, v189                               // 000000009000: 7F7A0BBD
	v_cvt_f32_i32_e32 v190, v190                               // 000000009004: 7F7C0BBE
	v_cvt_f32_i32_e32 v191, v191                               // 000000009008: 7F7E0BBF
	v_mul_f32_e32 v188, v25, v188                              // 00000000900C: 0B797919
	v_mul_f32_e32 v189, v25, v189                              // 000000009010: 0B7B7B19
	v_mul_f32_e32 v190, v25, v190                              // 000000009014: 0B7D7D19
	v_mul_f32_e32 v191, v25, v191                              // 000000009018: 0B7F7F19
	v_mul_f32_dpp v188, v12, v188 row_newbcast:0 row_mask:0xf bank_mask:0xf// 00000000901C: 0B7978FA FF01500C
	v_mul_f32_dpp v189, v12, v189 row_newbcast:1 row_mask:0xf bank_mask:0xf// 000000009024: 0B7B7AFA FF01510C
	v_mul_f32_dpp v190, v12, v190 row_newbcast:2 row_mask:0xf bank_mask:0xf// 00000000902C: 0B7D7CFA FF01520C
	v_mul_f32_dpp v191, v12, v191 row_newbcast:3 row_mask:0xf bank_mask:0xf// 000000009034: 0B7F7EFA FF01530C
	v_mul_f32_e32 v188, v21, v188                              // 00000000903C: 0B797915
	v_mul_f32_e32 v189, v21, v189                              // 000000009040: 0B7B7B15
	v_mul_f32_e32 v190, v21, v190                              // 000000009044: 0B7D7D15
	v_mul_f32_e32 v191, v21, v191                              // 000000009048: 0B7F7F15
	v_cvt_f32_i32_e32 v192, v192                               // 00000000904C: 7F800BC0
	v_cvt_f32_i32_e32 v193, v193                               // 000000009050: 7F820BC1
	v_cvt_f32_i32_e32 v194, v194                               // 000000009054: 7F840BC2
	v_cvt_f32_i32_e32 v195, v195                               // 000000009058: 7F860BC3
	v_mul_f32_e32 v192, v24, v192                              // 00000000905C: 0B818118
	v_mul_f32_e32 v193, v24, v193                              // 000000009060: 0B838318
	v_mul_f32_e32 v194, v24, v194                              // 000000009064: 0B858518
	v_mul_f32_e32 v195, v24, v195                              // 000000009068: 0B878718
	v_mul_f32_dpp v192, v12, v192 row_newbcast:4 row_mask:0xf bank_mask:0xf// 00000000906C: 0B8180FA FF01540C
	v_mul_f32_dpp v193, v12, v193 row_newbcast:5 row_mask:0xf bank_mask:0xf// 000000009074: 0B8382FA FF01550C
	v_mul_f32_dpp v194, v12, v194 row_newbcast:6 row_mask:0xf bank_mask:0xf// 00000000907C: 0B8584FA FF01560C
	v_mul_f32_dpp v195, v12, v195 row_newbcast:7 row_mask:0xf bank_mask:0xf// 000000009084: 0B8786FA FF01570C
	v_mul_f32_e32 v192, v20, v192                              // 00000000908C: 0B818114
	v_mul_f32_e32 v193, v20, v193                              // 000000009090: 0B838314
	v_mul_f32_e32 v194, v20, v194                              // 000000009094: 0B858514
	v_mul_f32_e32 v195, v20, v195                              // 000000009098: 0B878714
	v_cvt_f32_i32_e32 v196, v196                               // 00000000909C: 7F880BC4
	v_cvt_f32_i32_e32 v197, v197                               // 0000000090A0: 7F8A0BC5
	v_cvt_f32_i32_e32 v198, v198                               // 0000000090A4: 7F8C0BC6
	v_cvt_f32_i32_e32 v199, v199                               // 0000000090A8: 7F8E0BC7
	v_mul_f32_e32 v196, v25, v196                              // 0000000090AC: 0B898919
	v_mul_f32_e32 v197, v25, v197                              // 0000000090B0: 0B8B8B19
	v_mul_f32_e32 v198, v25, v198                              // 0000000090B4: 0B8D8D19
	v_mul_f32_e32 v199, v25, v199                              // 0000000090B8: 0B8F8F19
	v_mul_f32_dpp v196, v12, v196 row_newbcast:4 row_mask:0xf bank_mask:0xf// 0000000090BC: 0B8988FA FF01540C
	v_mul_f32_dpp v197, v12, v197 row_newbcast:5 row_mask:0xf bank_mask:0xf// 0000000090C4: 0B8B8AFA FF01550C
	v_mul_f32_dpp v198, v12, v198 row_newbcast:6 row_mask:0xf bank_mask:0xf// 0000000090CC: 0B8D8CFA FF01560C
	v_mul_f32_dpp v199, v12, v199 row_newbcast:7 row_mask:0xf bank_mask:0xf// 0000000090D4: 0B8F8EFA FF01570C
	v_mul_f32_e32 v196, v21, v196                              // 0000000090DC: 0B898915
	v_mul_f32_e32 v197, v21, v197                              // 0000000090E0: 0B8B8B15
	v_mul_f32_e32 v198, v21, v198                              // 0000000090E4: 0B8D8D15
	v_mul_f32_e32 v199, v21, v199                              // 0000000090E8: 0B8F8F15
	v_cvt_f32_i32_e32 v200, v200                               // 0000000090EC: 7F900BC8
	v_cvt_f32_i32_e32 v201, v201                               // 0000000090F0: 7F920BC9
	v_cvt_f32_i32_e32 v202, v202                               // 0000000090F4: 7F940BCA
	v_cvt_f32_i32_e32 v203, v203                               // 0000000090F8: 7F960BCB
	v_mul_f32_e32 v200, v24, v200                              // 0000000090FC: 0B919118
	v_mul_f32_e32 v201, v24, v201                              // 000000009100: 0B939318
	v_mul_f32_e32 v202, v24, v202                              // 000000009104: 0B959518
	v_mul_f32_e32 v203, v24, v203                              // 000000009108: 0B979718
	v_mul_f32_dpp v200, v12, v200 row_newbcast:8 row_mask:0xf bank_mask:0xf// 00000000910C: 0B9190FA FF01580C
	v_mul_f32_dpp v201, v12, v201 row_newbcast:9 row_mask:0xf bank_mask:0xf// 000000009114: 0B9392FA FF01590C
	v_mul_f32_dpp v202, v12, v202 row_newbcast:10 row_mask:0xf bank_mask:0xf// 00000000911C: 0B9594FA FF015A0C
	v_mul_f32_dpp v203, v12, v203 row_newbcast:11 row_mask:0xf bank_mask:0xf// 000000009124: 0B9796FA FF015B0C
	v_mul_f32_e32 v200, v20, v200                              // 00000000912C: 0B919114
	v_mul_f32_e32 v201, v20, v201                              // 000000009130: 0B939314
	v_mul_f32_e32 v202, v20, v202                              // 000000009134: 0B959514
	v_mul_f32_e32 v203, v20, v203                              // 000000009138: 0B979714
	v_cvt_f32_i32_e32 v204, v204                               // 00000000913C: 7F980BCC
	v_cvt_f32_i32_e32 v205, v205                               // 000000009140: 7F9A0BCD
	v_cvt_f32_i32_e32 v206, v206                               // 000000009144: 7F9C0BCE
	v_cvt_f32_i32_e32 v207, v207                               // 000000009148: 7F9E0BCF
	v_mul_f32_e32 v204, v25, v204                              // 00000000914C: 0B999919
	v_mul_f32_e32 v205, v25, v205                              // 000000009150: 0B9B9B19
	v_mul_f32_e32 v206, v25, v206                              // 000000009154: 0B9D9D19
	v_mul_f32_e32 v207, v25, v207                              // 000000009158: 0B9F9F19
	v_mul_f32_dpp v204, v12, v204 row_newbcast:8 row_mask:0xf bank_mask:0xf// 00000000915C: 0B9998FA FF01580C
	v_mul_f32_dpp v205, v12, v205 row_newbcast:9 row_mask:0xf bank_mask:0xf// 000000009164: 0B9B9AFA FF01590C
	v_mul_f32_dpp v206, v12, v206 row_newbcast:10 row_mask:0xf bank_mask:0xf// 00000000916C: 0B9D9CFA FF015A0C
	v_mul_f32_dpp v207, v12, v207 row_newbcast:11 row_mask:0xf bank_mask:0xf// 000000009174: 0B9F9EFA FF015B0C
	v_mul_f32_e32 v204, v21, v204                              // 00000000917C: 0B999915
	v_mul_f32_e32 v205, v21, v205                              // 000000009180: 0B9B9B15
	v_mul_f32_e32 v206, v21, v206                              // 000000009184: 0B9D9D15
	v_mul_f32_e32 v207, v21, v207                              // 000000009188: 0B9F9F15
	v_cvt_f32_i32_e32 v208, v208                               // 00000000918C: 7FA00BD0
	v_cvt_f32_i32_e32 v209, v209                               // 000000009190: 7FA20BD1
	v_cvt_f32_i32_e32 v210, v210                               // 000000009194: 7FA40BD2
	v_cvt_f32_i32_e32 v211, v211                               // 000000009198: 7FA60BD3
	v_mul_f32_e32 v208, v24, v208                              // 00000000919C: 0BA1A118
	v_mul_f32_e32 v209, v24, v209                              // 0000000091A0: 0BA3A318
	v_mul_f32_e32 v210, v24, v210                              // 0000000091A4: 0BA5A518
	v_mul_f32_e32 v211, v24, v211                              // 0000000091A8: 0BA7A718
	v_mul_f32_dpp v208, v12, v208 row_newbcast:12 row_mask:0xf bank_mask:0xf// 0000000091AC: 0BA1A0FA FF015C0C
	v_mul_f32_dpp v209, v12, v209 row_newbcast:13 row_mask:0xf bank_mask:0xf// 0000000091B4: 0BA3A2FA FF015D0C
	v_mul_f32_dpp v210, v12, v210 row_newbcast:14 row_mask:0xf bank_mask:0xf// 0000000091BC: 0BA5A4FA FF015E0C
	v_mul_f32_dpp v211, v12, v211 row_newbcast:15 row_mask:0xf bank_mask:0xf// 0000000091C4: 0BA7A6FA FF015F0C
	v_mul_f32_e32 v208, v20, v208                              // 0000000091CC: 0BA1A114
	v_mul_f32_e32 v209, v20, v209                              // 0000000091D0: 0BA3A314
	v_mul_f32_e32 v210, v20, v210                              // 0000000091D4: 0BA5A514
	v_mul_f32_e32 v211, v20, v211                              // 0000000091D8: 0BA7A714
	v_cvt_f32_i32_e32 v212, v212                               // 0000000091DC: 7FA80BD4
	v_cvt_f32_i32_e32 v213, v213                               // 0000000091E0: 7FAA0BD5
	v_cvt_f32_i32_e32 v214, v214                               // 0000000091E4: 7FAC0BD6
	v_cvt_f32_i32_e32 v215, v215                               // 0000000091E8: 7FAE0BD7
	v_mul_f32_e32 v212, v25, v212                              // 0000000091EC: 0BA9A919
	v_mul_f32_e32 v213, v25, v213                              // 0000000091F0: 0BABAB19
	v_mul_f32_e32 v214, v25, v214                              // 0000000091F4: 0BADAD19
	v_mul_f32_e32 v215, v25, v215                              // 0000000091F8: 0BAFAF19
	v_mul_f32_dpp v212, v12, v212 row_newbcast:12 row_mask:0xf bank_mask:0xf// 0000000091FC: 0BA9A8FA FF015C0C
	v_mul_f32_dpp v213, v12, v213 row_newbcast:13 row_mask:0xf bank_mask:0xf// 000000009204: 0BABAAFA FF015D0C
	v_mul_f32_dpp v214, v12, v214 row_newbcast:14 row_mask:0xf bank_mask:0xf// 00000000920C: 0BADACFA FF015E0C
	v_mul_f32_dpp v215, v12, v215 row_newbcast:15 row_mask:0xf bank_mask:0xf// 000000009214: 0BAFAEFA FF015F0C
	v_mul_f32_e32 v212, v21, v212                              // 00000000921C: 0BA9A915
	v_mul_f32_e32 v213, v21, v213                              // 000000009220: 0BABAB15
	v_mul_f32_e32 v214, v21, v214                              // 000000009224: 0BADAD15
	v_mul_f32_e32 v215, v21, v215                              // 000000009228: 0BAFAF15
	v_cvt_pkrtz_f16_f32 v184, v184, v185                       // 00000000922C: D29600B8 000373B8
	v_cvt_pkrtz_f16_f32 v185, v186, v187                       // 000000009234: D29600B9 000377BA
	v_cvt_pkrtz_f16_f32 v186, v188, v189                       // 00000000923C: D29600BA 00037BBC
	v_cvt_pkrtz_f16_f32 v187, v190, v191                       // 000000009244: D29600BB 00037FBE
	v_cvt_pkrtz_f16_f32 v188, v192, v193                       // 00000000924C: D29600BC 000383C0
	v_cvt_pkrtz_f16_f32 v189, v194, v195                       // 000000009254: D29600BD 000387C2
	v_cvt_pkrtz_f16_f32 v190, v196, v197                       // 00000000925C: D29600BE 00038BC4
	v_cvt_pkrtz_f16_f32 v191, v198, v199                       // 000000009264: D29600BF 00038FC6
	v_cvt_pkrtz_f16_f32 v192, v200, v201                       // 00000000926C: D29600C0 000393C8
	v_cvt_pkrtz_f16_f32 v193, v202, v203                       // 000000009274: D29600C1 000397CA
	v_cvt_pkrtz_f16_f32 v194, v204, v205                       // 00000000927C: D29600C2 00039BCC
	v_cvt_pkrtz_f16_f32 v195, v206, v207                       // 000000009284: D29600C3 00039FCE
	v_cvt_pkrtz_f16_f32 v196, v208, v209                       // 00000000928C: D29600C4 0003A3D0
	v_cvt_pkrtz_f16_f32 v197, v210, v211                       // 000000009294: D29600C5 0003A7D2
	v_cvt_pkrtz_f16_f32 v198, v212, v213                       // 00000000929C: D29600C6 0003ABD4
	v_cvt_pkrtz_f16_f32 v199, v214, v215                       // 0000000092A4: D29600C7 0003AFD6
	ds_write_b64 v3, v[184:185] offset:33024                   // 0000000092AC: D89A8100 0000B803
	ds_write_b64 v3, v[186:187] offset:41728                   // 0000000092B4: D89AA300 0000BA03
	ds_write_b64 v3, v[188:189] offset:35200                   // 0000000092BC: D89A8980 0000BC03
	ds_write_b64 v3, v[190:191] offset:43904                   // 0000000092C4: D89AAB80 0000BE03
	ds_write_b64 v3, v[192:193] offset:37376                   // 0000000092CC: D89A9200 0000C003
	ds_write_b64 v3, v[194:195] offset:46080                   // 0000000092D4: D89AB400 0000C203
	ds_write_b64 v3, v[196:197] offset:39552                   // 0000000092DC: D89A9A80 0000C403
	ds_write_b64 v3, v[198:199] offset:48256                   // 0000000092E4: D89ABC80 0000C603
	s_waitcnt lgkmcnt(0)                                       // 0000000092EC: BF8CC07F
	s_barrier                                                  // 0000000092F0: BF8A0000
	ds_read_b32 v64, v4 offset:33024                           // 0000000092F4: D86C8100 40000004
	ds_read_b32 v65, v4 offset:37376                           // 0000000092FC: D86C9200 41000004
	ds_read_b32 v66, v4 offset:33056                           // 000000009304: D86C8120 42000004
	ds_read_b32 v67, v4 offset:37408                           // 00000000930C: D86C9220 43000004
	ds_read_b32 v68, v4 offset:33088                           // 000000009314: D86C8140 44000004
	ds_read_b32 v69, v4 offset:37440                           // 00000000931C: D86C9240 45000004
	ds_read_b32 v70, v4 offset:33120                           // 000000009324: D86C8160 46000004
	ds_read_b32 v71, v4 offset:37472                           // 00000000932C: D86C9260 47000004
	ds_read_b32 v72, v4 offset:41728                           // 000000009334: D86CA300 48000004
	ds_read_b32 v73, v4 offset:46080                           // 00000000933C: D86CB400 49000004
	ds_read_b32 v74, v4 offset:41760                           // 000000009344: D86CA320 4A000004
	ds_read_b32 v75, v4 offset:46112                           // 00000000934C: D86CB420 4B000004
	ds_read_b32 v76, v4 offset:41792                           // 000000009354: D86CA340 4C000004
	ds_read_b32 v77, v4 offset:46144                           // 00000000935C: D86CB440 4D000004
	ds_read_b32 v78, v4 offset:41824                           // 000000009364: D86CA360 4E000004
	ds_read_b32 v79, v4 offset:46176                           // 00000000936C: D86CB460 4F000004
	s_waitcnt lgkmcnt(0)                                       // 000000009374: BF8CC07F
	s_mov_b64 exec, s[20:21]                                   // 000000009378: BEFE0114
	global_atomic_pk_add_f16 v80, v64, s[8:9]                  // 00000000937C: DD388000 00084050
	s_mov_b64 exec, s[36:37]                                   // 000000009384: BEFE0124
	s_mov_b64 exec, s[20:21]                                   // 000000009388: BEFE0114
	global_atomic_pk_add_f16 v80, v65, s[8:9] offset:256       // 00000000938C: DD388100 00084150
	s_mov_b64 exec, s[36:37]                                   // 000000009394: BEFE0124
	s_mov_b64 exec, s[22:23]                                   // 000000009398: BEFE0116
	global_atomic_pk_add_f16 v82, v66, s[8:9]                  // 00000000939C: DD388000 00084252
	s_mov_b64 exec, s[36:37]                                   // 0000000093A4: BEFE0124
	s_mov_b64 exec, s[22:23]                                   // 0000000093A8: BEFE0116
	global_atomic_pk_add_f16 v82, v67, s[8:9] offset:256       // 0000000093AC: DD388100 00084352
	s_mov_b64 exec, s[36:37]                                   // 0000000093B4: BEFE0124
	s_mov_b64 exec, s[24:25]                                   // 0000000093B8: BEFE0118
	global_atomic_pk_add_f16 v84, v68, s[8:9]                  // 0000000093BC: DD388000 00084454
	s_mov_b64 exec, s[36:37]                                   // 0000000093C4: BEFE0124
	s_mov_b64 exec, s[24:25]                                   // 0000000093C8: BEFE0118
	global_atomic_pk_add_f16 v84, v69, s[8:9] offset:256       // 0000000093CC: DD388100 00084554
	s_mov_b64 exec, s[36:37]                                   // 0000000093D4: BEFE0124
	s_mov_b64 exec, s[26:27]                                   // 0000000093D8: BEFE011A
	global_atomic_pk_add_f16 v86, v70, s[8:9]                  // 0000000093DC: DD388000 00084656
	s_mov_b64 exec, s[36:37]                                   // 0000000093E4: BEFE0124
	s_mov_b64 exec, s[26:27]                                   // 0000000093E8: BEFE011A
	global_atomic_pk_add_f16 v86, v71, s[8:9] offset:256       // 0000000093EC: DD388100 00084756
	s_mov_b64 exec, s[36:37]                                   // 0000000093F4: BEFE0124
	s_mov_b64 exec, s[28:29]                                   // 0000000093F8: BEFE011C
	global_atomic_pk_add_f16 v88, v72, s[8:9]                  // 0000000093FC: DD388000 00084858
	s_mov_b64 exec, s[36:37]                                   // 000000009404: BEFE0124
	s_mov_b64 exec, s[28:29]                                   // 000000009408: BEFE011C
	global_atomic_pk_add_f16 v88, v73, s[8:9] offset:256       // 00000000940C: DD388100 00084958
	s_mov_b64 exec, s[36:37]                                   // 000000009414: BEFE0124
	s_mov_b64 exec, s[30:31]                                   // 000000009418: BEFE011E
	global_atomic_pk_add_f16 v90, v74, s[8:9]                  // 00000000941C: DD388000 00084A5A
	s_mov_b64 exec, s[36:37]                                   // 000000009424: BEFE0124
	s_mov_b64 exec, s[30:31]                                   // 000000009428: BEFE011E
	global_atomic_pk_add_f16 v90, v75, s[8:9] offset:256       // 00000000942C: DD388100 00084B5A
	s_mov_b64 exec, s[36:37]                                   // 000000009434: BEFE0124
	s_mov_b64 exec, s[32:33]                                   // 000000009438: BEFE0120
	global_atomic_pk_add_f16 v92, v76, s[8:9]                  // 00000000943C: DD388000 00084C5C
	s_mov_b64 exec, s[36:37]                                   // 000000009444: BEFE0124
	s_mov_b64 exec, s[32:33]                                   // 000000009448: BEFE0120
	global_atomic_pk_add_f16 v92, v77, s[8:9] offset:256       // 00000000944C: DD388100 00084D5C
	s_mov_b64 exec, s[36:37]                                   // 000000009454: BEFE0124
	s_mov_b64 exec, s[34:35]                                   // 000000009458: BEFE0122
	global_atomic_pk_add_f16 v94, v78, s[8:9]                  // 00000000945C: DD388000 00084E5E
	s_mov_b64 exec, s[36:37]                                   // 000000009464: BEFE0124
	s_mov_b64 exec, s[34:35]                                   // 000000009468: BEFE0122
	global_atomic_pk_add_f16 v94, v79, s[8:9] offset:256       // 00000000946C: DD388100 00084F5E
	s_mov_b64 exec, s[36:37]                                   // 000000009474: BEFE0124
	s_add_u32 s8, s59, s8                                      // 000000009478: 8008083B
	s_addc_u32 s9, 0, s9                                       // 00000000947C: 82090980
	s_addk_i32 s80, 0x100                                      // 000000009480: B7500100
	s_cmp_lt_i32 s80, s81                                      // 000000009484: BF045150
	s_cbranch_scc0 label_0F7B                                  // 000000009488: BF84F5D8
	s_waitcnt vmcnt(41)                                        // 00000000948C: BF8C8F79
	s_barrier                                                  // 000000009490: BF8A0000
	v_mfma_i32_16x16x32_i8 v[216:219], a[112:113], v[128:129], 0// 000000009494: D3D700D8 0A030170
	buffer_load_dwordx4 a[0:3], v41, s[12:15], 0 offen         // 00000000949C: E05C1000 80830029
	v_mfma_i32_16x16x32_i8 v[216:219], a[114:115], v[130:131], v[216:219]// 0000000094A4: D3D700D8 0F630572
	v_mfma_i32_16x16x32_i8 v[220:223], a[112:113], v[156:157], 0// 0000000094AC: D3D700DC 0A033970
	v_mfma_i32_16x16x32_i8 v[220:223], a[114:115], v[158:159], v[220:223]// 0000000094B4: D3D700DC 0F733D72
	v_mfma_i32_16x16x32_i8 v[224:227], a[116:117], v[128:129], 0// 0000000094BC: D3D700E0 0A030174
	buffer_load_dwordx4 a[4:7], v42, s[12:15], 0 offen         // 0000000094C4: E05C1000 8083042A
	v_mfma_i32_16x16x32_i8 v[224:227], a[118:119], v[130:131], v[224:227]// 0000000094CC: D3D700E0 0F830576
	v_mfma_i32_16x16x32_i8 v[228:231], a[116:117], v[156:157], 0// 0000000094D4: D3D700E4 0A033974
	v_mfma_i32_16x16x32_i8 v[228:231], a[118:119], v[158:159], v[228:231]// 0000000094DC: D3D700E4 0F933D76
	v_mfma_i32_16x16x32_i8 v[232:235], a[120:121], v[128:129], 0// 0000000094E4: D3D700E8 0A030178
	buffer_load_dwordx4 a[8:11], v43, s[12:15], 0 offen        // 0000000094EC: E05C1000 8083082B
	v_mfma_i32_16x16x32_i8 v[232:235], a[122:123], v[130:131], v[232:235]// 0000000094F4: D3D700E8 0FA3057A
	v_mfma_i32_16x16x32_i8 v[236:239], a[120:121], v[156:157], 0// 0000000094FC: D3D700EC 0A033978
	v_mfma_i32_16x16x32_i8 v[236:239], a[122:123], v[158:159], v[236:239]// 000000009504: D3D700EC 0FB33D7A
	v_mfma_i32_16x16x32_i8 v[240:243], a[124:125], v[128:129], 0// 00000000950C: D3D700F0 0A03017C
	buffer_load_dwordx4 a[12:15], v44, s[12:15], 0 offen       // 000000009514: E05C1000 80830C2C
	s_add_u32 s12, s78, s12                                    // 00000000951C: 800C0C4E
	s_addc_u32 s13, 0, s13                                     // 000000009520: 820D0D80
	v_mfma_i32_16x16x32_i8 v[240:243], a[126:127], v[130:131], v[240:243]// 000000009524: D3D700F0 0FC3057E
	v_mfma_i32_16x16x32_i8 v[244:247], a[124:125], v[156:157], 0// 00000000952C: D3D700F4 0A03397C
	v_mfma_i32_16x16x32_i8 v[244:247], a[126:127], v[158:159], v[244:247]// 000000009534: D3D700F4 0FD33D7E
	s_waitcnt vmcnt(41)                                        // 00000000953C: BF8C8F79
	v_mfma_i32_16x16x32_i8 v[216:219], a[128:129], v[132:133], v[216:219]// 000000009540: D3D700D8 0F630980
	buffer_load_dwordx4 a[16:19], v41, s[12:15], 0 offen       // 000000009548: E05C1000 80831029
	v_mfma_i32_16x16x32_i8 v[216:219], a[130:131], v[134:135], v[216:219]// 000000009550: D3D700D8 0F630D82
	v_mfma_i32_16x16x32_i8 v[220:223], a[128:129], v[160:161], v[220:223]// 000000009558: D3D700DC 0F734180
	v_mfma_i32_16x16x32_i8 v[220:223], a[130:131], v[162:163], v[220:223]// 000000009560: D3D700DC 0F734582
	v_mfma_i32_16x16x32_i8 v[224:227], a[132:133], v[132:133], v[224:227]// 000000009568: D3D700E0 0F830984
	buffer_load_dwordx4 a[20:23], v42, s[12:15], 0 offen       // 000000009570: E05C1000 8083142A
	v_mfma_i32_16x16x32_i8 v[224:227], a[134:135], v[134:135], v[224:227]// 000000009578: D3D700E0 0F830D86
	v_mfma_i32_16x16x32_i8 v[228:231], a[132:133], v[160:161], v[228:231]// 000000009580: D3D700E4 0F934184
	v_mfma_i32_16x16x32_i8 v[228:231], a[134:135], v[162:163], v[228:231]// 000000009588: D3D700E4 0F934586
	v_mfma_i32_16x16x32_i8 v[232:235], a[136:137], v[132:133], v[232:235]// 000000009590: D3D700E8 0FA30988
	buffer_load_dwordx4 a[24:27], v43, s[12:15], 0 offen       // 000000009598: E05C1000 8083182B
	v_mfma_i32_16x16x32_i8 v[232:235], a[138:139], v[134:135], v[232:235]// 0000000095A0: D3D700E8 0FA30D8A
	v_mfma_i32_16x16x32_i8 v[236:239], a[136:137], v[160:161], v[236:239]// 0000000095A8: D3D700EC 0FB34188
	v_mfma_i32_16x16x32_i8 v[236:239], a[138:139], v[162:163], v[236:239]// 0000000095B0: D3D700EC 0FB3458A
	v_mfma_i32_16x16x32_i8 v[240:243], a[140:141], v[132:133], v[240:243]// 0000000095B8: D3D700F0 0FC3098C
	buffer_load_dwordx4 a[28:31], v44, s[12:15], 0 offen       // 0000000095C0: E05C1000 80831C2C
	s_add_u32 s12, s78, s12                                    // 0000000095C8: 800C0C4E
	s_addc_u32 s13, 0, s13                                     // 0000000095CC: 820D0D80
	v_mfma_i32_16x16x32_i8 v[240:243], a[142:143], v[134:135], v[240:243]// 0000000095D0: D3D700F0 0FC30D8E
	v_mfma_i32_16x16x32_i8 v[244:247], a[140:141], v[160:161], v[244:247]// 0000000095D8: D3D700F4 0FD3418C
	v_mfma_i32_16x16x32_i8 v[244:247], a[142:143], v[162:163], v[244:247]// 0000000095E0: D3D700F4 0FD3458E
	s_waitcnt vmcnt(41)                                        // 0000000095E8: BF8C8F79
	v_mfma_i32_16x16x32_i8 v[216:219], a[144:145], v[136:137], v[216:219]// 0000000095EC: D3D700D8 0F631190
	buffer_load_dwordx4 a[32:35], v41, s[12:15], 0 offen       // 0000000095F4: E05C1000 80832029
	v_mfma_i32_16x16x32_i8 v[216:219], a[146:147], v[138:139], v[216:219]// 0000000095FC: D3D700D8 0F631592
	v_mfma_i32_16x16x32_i8 v[220:223], a[144:145], v[164:165], v[220:223]// 000000009604: D3D700DC 0F734990
	v_mfma_i32_16x16x32_i8 v[220:223], a[146:147], v[166:167], v[220:223]// 00000000960C: D3D700DC 0F734D92
	v_mfma_i32_16x16x32_i8 v[224:227], a[148:149], v[136:137], v[224:227]// 000000009614: D3D700E0 0F831194
	buffer_load_dwordx4 a[36:39], v42, s[12:15], 0 offen       // 00000000961C: E05C1000 8083242A
	v_mfma_i32_16x16x32_i8 v[224:227], a[150:151], v[138:139], v[224:227]// 000000009624: D3D700E0 0F831596
	v_mfma_i32_16x16x32_i8 v[228:231], a[148:149], v[164:165], v[228:231]// 00000000962C: D3D700E4 0F934994
	v_mfma_i32_16x16x32_i8 v[228:231], a[150:151], v[166:167], v[228:231]// 000000009634: D3D700E4 0F934D96
	v_mfma_i32_16x16x32_i8 v[232:235], a[152:153], v[136:137], v[232:235]// 00000000963C: D3D700E8 0FA31198
	buffer_load_dwordx4 a[40:43], v43, s[12:15], 0 offen       // 000000009644: E05C1000 8083282B
	v_mfma_i32_16x16x32_i8 v[232:235], a[154:155], v[138:139], v[232:235]// 00000000964C: D3D700E8 0FA3159A
	v_mfma_i32_16x16x32_i8 v[236:239], a[152:153], v[164:165], v[236:239]// 000000009654: D3D700EC 0FB34998
	v_mfma_i32_16x16x32_i8 v[236:239], a[154:155], v[166:167], v[236:239]// 00000000965C: D3D700EC 0FB34D9A
	v_mfma_i32_16x16x32_i8 v[240:243], a[156:157], v[136:137], v[240:243]// 000000009664: D3D700F0 0FC3119C
	buffer_load_dwordx4 a[44:47], v44, s[12:15], 0 offen       // 00000000966C: E05C1000 80832C2C
	s_add_u32 s12, s78, s12                                    // 000000009674: 800C0C4E
	s_addc_u32 s13, 0, s13                                     // 000000009678: 820D0D80
	v_mfma_i32_16x16x32_i8 v[240:243], a[158:159], v[138:139], v[240:243]// 00000000967C: D3D700F0 0FC3159E
	v_mfma_i32_16x16x32_i8 v[244:247], a[156:157], v[164:165], v[244:247]// 000000009684: D3D700F4 0FD3499C
	v_mfma_i32_16x16x32_i8 v[244:247], a[158:159], v[166:167], v[244:247]// 00000000968C: D3D700F4 0FD34D9E
	s_waitcnt vmcnt(41)                                        // 000000009694: BF8C8F79
	v_mfma_i32_16x16x32_i8 v[216:219], a[160:161], v[140:141], v[216:219]// 000000009698: D3D700D8 0F6319A0
	buffer_load_dwordx4 a[48:51], v41, s[12:15], 0 offen       // 0000000096A0: E05C1000 80833029
	v_mfma_i32_16x16x32_i8 v[216:219], a[162:163], v[142:143], v[216:219]// 0000000096A8: D3D700D8 0F631DA2
	v_mfma_i32_16x16x32_i8 v[220:223], a[160:161], v[168:169], v[220:223]// 0000000096B0: D3D700DC 0F7351A0
	v_mfma_i32_16x16x32_i8 v[220:223], a[162:163], v[170:171], v[220:223]// 0000000096B8: D3D700DC 0F7355A2
	v_mfma_i32_16x16x32_i8 v[224:227], a[164:165], v[140:141], v[224:227]// 0000000096C0: D3D700E0 0F8319A4
	buffer_load_dwordx4 a[52:55], v42, s[12:15], 0 offen       // 0000000096C8: E05C1000 8083342A
	v_mfma_i32_16x16x32_i8 v[224:227], a[166:167], v[142:143], v[224:227]// 0000000096D0: D3D700E0 0F831DA6
	v_mfma_i32_16x16x32_i8 v[228:231], a[164:165], v[168:169], v[228:231]// 0000000096D8: D3D700E4 0F9351A4
	v_mfma_i32_16x16x32_i8 v[228:231], a[166:167], v[170:171], v[228:231]// 0000000096E0: D3D700E4 0F9355A6
	v_mfma_i32_16x16x32_i8 v[232:235], a[168:169], v[140:141], v[232:235]// 0000000096E8: D3D700E8 0FA319A8
	buffer_load_dwordx4 a[56:59], v43, s[12:15], 0 offen       // 0000000096F0: E05C1000 8083382B
	v_mfma_i32_16x16x32_i8 v[232:235], a[170:171], v[142:143], v[232:235]// 0000000096F8: D3D700E8 0FA31DAA
	v_mfma_i32_16x16x32_i8 v[236:239], a[168:169], v[168:169], v[236:239]// 000000009700: D3D700EC 0FB351A8
	v_mfma_i32_16x16x32_i8 v[236:239], a[170:171], v[170:171], v[236:239]// 000000009708: D3D700EC 0FB355AA
	v_mfma_i32_16x16x32_i8 v[240:243], a[172:173], v[140:141], v[240:243]// 000000009710: D3D700F0 0FC319AC
	buffer_load_dwordx4 a[60:63], v44, s[12:15], 0 offen       // 000000009718: E05C1000 80833C2C
	s_add_u32 s12, s78, s12                                    // 000000009720: 800C0C4E
	s_addc_u32 s13, 0, s13                                     // 000000009724: 820D0D80
	v_mfma_i32_16x16x32_i8 v[240:243], a[174:175], v[142:143], v[240:243]// 000000009728: D3D700F0 0FC31DAE
	v_mfma_i32_16x16x32_i8 v[244:247], a[172:173], v[168:169], v[244:247]// 000000009730: D3D700F4 0FD351AC
	v_mfma_i32_16x16x32_i8 v[244:247], a[174:175], v[170:171], v[244:247]// 000000009738: D3D700F4 0FD355AE
	s_waitcnt vmcnt(41)                                        // 000000009740: BF8C8F79
	v_mfma_i32_16x16x32_i8 v[216:219], a[176:177], v[144:145], v[216:219]// 000000009744: D3D700D8 0F6321B0
	buffer_load_dwordx4 a[64:67], v41, s[12:15], 0 offen       // 00000000974C: E05C1000 80834029
	v_mfma_i32_16x16x32_i8 v[216:219], a[178:179], v[146:147], v[216:219]// 000000009754: D3D700D8 0F6325B2
	v_mfma_i32_16x16x32_i8 v[220:223], a[176:177], v[172:173], v[220:223]// 00000000975C: D3D700DC 0F7359B0
	v_mfma_i32_16x16x32_i8 v[220:223], a[178:179], v[174:175], v[220:223]// 000000009764: D3D700DC 0F735DB2
	v_mfma_i32_16x16x32_i8 v[224:227], a[180:181], v[144:145], v[224:227]// 00000000976C: D3D700E0 0F8321B4
	buffer_load_dwordx4 a[68:71], v42, s[12:15], 0 offen       // 000000009774: E05C1000 8083442A
	v_mfma_i32_16x16x32_i8 v[224:227], a[182:183], v[146:147], v[224:227]// 00000000977C: D3D700E0 0F8325B6
	v_mfma_i32_16x16x32_i8 v[228:231], a[180:181], v[172:173], v[228:231]// 000000009784: D3D700E4 0F9359B4
	v_mfma_i32_16x16x32_i8 v[228:231], a[182:183], v[174:175], v[228:231]// 00000000978C: D3D700E4 0F935DB6
	v_mfma_i32_16x16x32_i8 v[232:235], a[184:185], v[144:145], v[232:235]// 000000009794: D3D700E8 0FA321B8
	buffer_load_dwordx4 a[72:75], v43, s[12:15], 0 offen       // 00000000979C: E05C1000 8083482B
	v_mfma_i32_16x16x32_i8 v[232:235], a[186:187], v[146:147], v[232:235]// 0000000097A4: D3D700E8 0FA325BA
	v_mfma_i32_16x16x32_i8 v[236:239], a[184:185], v[172:173], v[236:239]// 0000000097AC: D3D700EC 0FB359B8
	v_mfma_i32_16x16x32_i8 v[236:239], a[186:187], v[174:175], v[236:239]// 0000000097B4: D3D700EC 0FB35DBA
	v_mfma_i32_16x16x32_i8 v[240:243], a[188:189], v[144:145], v[240:243]// 0000000097BC: D3D700F0 0FC321BC
	buffer_load_dwordx4 a[76:79], v44, s[12:15], 0 offen       // 0000000097C4: E05C1000 80834C2C
	s_add_u32 s12, s78, s12                                    // 0000000097CC: 800C0C4E
	s_addc_u32 s13, 0, s13                                     // 0000000097D0: 820D0D80
	v_mfma_i32_16x16x32_i8 v[240:243], a[190:191], v[146:147], v[240:243]// 0000000097D4: D3D700F0 0FC325BE
	v_mfma_i32_16x16x32_i8 v[244:247], a[188:189], v[172:173], v[244:247]// 0000000097DC: D3D700F4 0FD359BC
	v_mfma_i32_16x16x32_i8 v[244:247], a[190:191], v[174:175], v[244:247]// 0000000097E4: D3D700F4 0FD35DBE
	s_waitcnt vmcnt(41)                                        // 0000000097EC: BF8C8F79
	v_mfma_i32_16x16x32_i8 v[216:219], a[192:193], v[148:149], v[216:219]// 0000000097F0: D3D700D8 0F6329C0
	buffer_load_dwordx4 a[80:83], v41, s[12:15], 0 offen       // 0000000097F8: E05C1000 80835029
	v_mfma_i32_16x16x32_i8 v[216:219], a[194:195], v[150:151], v[216:219]// 000000009800: D3D700D8 0F632DC2
	v_mfma_i32_16x16x32_i8 v[220:223], a[192:193], v[176:177], v[220:223]// 000000009808: D3D700DC 0F7361C0
	v_mfma_i32_16x16x32_i8 v[220:223], a[194:195], v[178:179], v[220:223]// 000000009810: D3D700DC 0F7365C2
	v_mfma_i32_16x16x32_i8 v[224:227], a[196:197], v[148:149], v[224:227]// 000000009818: D3D700E0 0F8329C4
	buffer_load_dwordx4 a[84:87], v42, s[12:15], 0 offen       // 000000009820: E05C1000 8083542A
	v_mfma_i32_16x16x32_i8 v[224:227], a[198:199], v[150:151], v[224:227]// 000000009828: D3D700E0 0F832DC6
	v_mfma_i32_16x16x32_i8 v[228:231], a[196:197], v[176:177], v[228:231]// 000000009830: D3D700E4 0F9361C4
	v_mfma_i32_16x16x32_i8 v[228:231], a[198:199], v[178:179], v[228:231]// 000000009838: D3D700E4 0F9365C6
	v_mfma_i32_16x16x32_i8 v[232:235], a[200:201], v[148:149], v[232:235]// 000000009840: D3D700E8 0FA329C8
	buffer_load_dwordx4 a[88:91], v43, s[12:15], 0 offen       // 000000009848: E05C1000 8083582B
	v_mfma_i32_16x16x32_i8 v[232:235], a[202:203], v[150:151], v[232:235]// 000000009850: D3D700E8 0FA32DCA
	v_mfma_i32_16x16x32_i8 v[236:239], a[200:201], v[176:177], v[236:239]// 000000009858: D3D700EC 0FB361C8
	v_mfma_i32_16x16x32_i8 v[236:239], a[202:203], v[178:179], v[236:239]// 000000009860: D3D700EC 0FB365CA
	v_mfma_i32_16x16x32_i8 v[240:243], a[204:205], v[148:149], v[240:243]// 000000009868: D3D700F0 0FC329CC
	buffer_load_dwordx4 a[92:95], v44, s[12:15], 0 offen       // 000000009870: E05C1000 80835C2C
	s_add_u32 s12, s78, s12                                    // 000000009878: 800C0C4E
	s_addc_u32 s13, 0, s13                                     // 00000000987C: 820D0D80
	v_mfma_i32_16x16x32_i8 v[240:243], a[206:207], v[150:151], v[240:243]// 000000009880: D3D700F0 0FC32DCE
	v_mfma_i32_16x16x32_i8 v[244:247], a[204:205], v[176:177], v[244:247]// 000000009888: D3D700F4 0FD361CC
	v_mfma_i32_16x16x32_i8 v[244:247], a[206:207], v[178:179], v[244:247]// 000000009890: D3D700F4 0FD365CE
	s_waitcnt vmcnt(40)                                        // 000000009898: BF8C8F78
	v_mfma_i32_16x16x32_i8 v[216:219], a[208:209], v[152:153], v[216:219]// 00000000989C: D3D700D8 0F6331D0
	buffer_load_dwordx4 a[96:99], v41, s[12:15], 0 offen       // 0000000098A4: E05C1000 80836029
	v_mfma_i32_16x16x32_i8 v[216:219], a[210:211], v[154:155], v[216:219]// 0000000098AC: D3D700D8 0F6335D2
	v_mfma_i32_16x16x32_i8 v[220:223], a[208:209], v[180:181], v[220:223]// 0000000098B4: D3D700DC 0F7369D0
	buffer_load_dword v12, v5, s[16:19], 0 offen               // 0000000098BC: E0501000 80040C05
	v_mfma_i32_16x16x32_i8 v[220:223], a[210:211], v[182:183], v[220:223]// 0000000098C4: D3D700DC 0F736DD2
	v_mfma_i32_16x16x32_i8 v[224:227], a[212:213], v[152:153], v[224:227]// 0000000098CC: D3D700E0 0F8331D4
	buffer_load_dwordx4 a[100:103], v42, s[12:15], 0 offen     // 0000000098D4: E05C1000 8083642A
	v_mfma_i32_16x16x32_i8 v[224:227], a[214:215], v[154:155], v[224:227]// 0000000098DC: D3D700E0 0F8335D6
	v_mfma_i32_16x16x32_i8 v[228:231], a[212:213], v[180:181], v[228:231]// 0000000098E4: D3D700E4 0F9369D4
	v_mfma_i32_16x16x32_i8 v[228:231], a[214:215], v[182:183], v[228:231]// 0000000098EC: D3D700E4 0F936DD6
	v_mfma_i32_16x16x32_i8 v[232:235], a[216:217], v[152:153], v[232:235]// 0000000098F4: D3D700E8 0FA331D8
	buffer_load_dwordx4 a[104:107], v43, s[12:15], 0 offen     // 0000000098FC: E05C1000 8083682B
	v_mfma_i32_16x16x32_i8 v[232:235], a[218:219], v[154:155], v[232:235]// 000000009904: D3D700E8 0FA335DA
	v_mfma_i32_16x16x32_i8 v[236:239], a[216:217], v[180:181], v[236:239]// 00000000990C: D3D700EC 0FB369D8
	v_mfma_i32_16x16x32_i8 v[236:239], a[218:219], v[182:183], v[236:239]// 000000009914: D3D700EC 0FB36DDA
	v_mfma_i32_16x16x32_i8 v[240:243], a[220:221], v[152:153], v[240:243]// 00000000991C: D3D700F0 0FC331DC
	buffer_load_dwordx4 a[108:111], v44, s[12:15], 0 offen     // 000000009924: E05C1000 80836C2C
	v_mfma_i32_16x16x32_i8 v[240:243], a[222:223], v[154:155], v[240:243]// 00000000992C: D3D700F0 0FC335DE
	v_mfma_i32_16x16x32_i8 v[244:247], a[220:221], v[180:181], v[244:247]// 000000009934: D3D700F4 0FD369DC
	v_mfma_i32_16x16x32_i8 v[244:247], a[222:223], v[182:183], v[244:247]// 00000000993C: D3D700F4 0FD36DDE
	s_add_u32 s60, 0x200, s80                                  // 000000009944: 803C50FF 00000200
	s_cmp_lt_u32 s60, s81                                      // 00000000994C: BF0A513C
	s_cselect_b32 s56, s56, 0                                  // 000000009950: 85388038
	s_cselect_b32 s78, s78, 0                                  // 000000009954: 854E804E
	s_cselect_b32 s79, s79, 0                                  // 000000009958: 854F804F
	s_add_u32 s12, s56, s12                                    // 00000000995C: 800C0C38
	s_addc_u32 s13, 0, s13                                     // 000000009960: 820D0D80
	s_add_u32 s16, s79, s16                                    // 000000009964: 8010104F
	s_addc_u32 s17, 0, s17                                     // 000000009968: 82111180
	v_cvt_f32_i32_e32 v216, v216                               // 00000000996C: 7FB00BD8
	v_cvt_f32_i32_e32 v217, v217                               // 000000009970: 7FB20BD9
	v_cvt_f32_i32_e32 v218, v218                               // 000000009974: 7FB40BDA
	v_cvt_f32_i32_e32 v219, v219                               // 000000009978: 7FB60BDB
	v_mul_f32_e32 v216, v24, v216                              // 00000000997C: 0BB1B118
	v_mul_f32_e32 v217, v24, v217                              // 000000009980: 0BB3B318
	v_mul_f32_e32 v218, v24, v218                              // 000000009984: 0BB5B518
	v_mul_f32_e32 v219, v24, v219                              // 000000009988: 0BB7B718
	v_mul_f32_dpp v216, v13, v216 row_newbcast:0 row_mask:0xf bank_mask:0xf// 00000000998C: 0BB1B0FA FF01500D
	v_mul_f32_dpp v217, v13, v217 row_newbcast:1 row_mask:0xf bank_mask:0xf// 000000009994: 0BB3B2FA FF01510D
	v_mul_f32_dpp v218, v13, v218 row_newbcast:2 row_mask:0xf bank_mask:0xf// 00000000999C: 0BB5B4FA FF01520D
	v_mul_f32_dpp v219, v13, v219 row_newbcast:3 row_mask:0xf bank_mask:0xf// 0000000099A4: 0BB7B6FA FF01530D
	v_mul_f32_e32 v216, v20, v216                              // 0000000099AC: 0BB1B114
	v_mul_f32_e32 v217, v20, v217                              // 0000000099B0: 0BB3B314
	v_mul_f32_e32 v218, v20, v218                              // 0000000099B4: 0BB5B514
	v_mul_f32_e32 v219, v20, v219                              // 0000000099B8: 0BB7B714
	v_cvt_f32_i32_e32 v220, v220                               // 0000000099BC: 7FB80BDC
	v_cvt_f32_i32_e32 v221, v221                               // 0000000099C0: 7FBA0BDD
	v_cvt_f32_i32_e32 v222, v222                               // 0000000099C4: 7FBC0BDE
	v_cvt_f32_i32_e32 v223, v223                               // 0000000099C8: 7FBE0BDF
	v_mul_f32_e32 v220, v25, v220                              // 0000000099CC: 0BB9B919
	v_mul_f32_e32 v221, v25, v221                              // 0000000099D0: 0BBBBB19
	v_mul_f32_e32 v222, v25, v222                              // 0000000099D4: 0BBDBD19
	v_mul_f32_e32 v223, v25, v223                              // 0000000099D8: 0BBFBF19
	v_mul_f32_dpp v220, v13, v220 row_newbcast:0 row_mask:0xf bank_mask:0xf// 0000000099DC: 0BB9B8FA FF01500D
	v_mul_f32_dpp v221, v13, v221 row_newbcast:1 row_mask:0xf bank_mask:0xf// 0000000099E4: 0BBBBAFA FF01510D
	v_mul_f32_dpp v222, v13, v222 row_newbcast:2 row_mask:0xf bank_mask:0xf// 0000000099EC: 0BBDBCFA FF01520D
	v_mul_f32_dpp v223, v13, v223 row_newbcast:3 row_mask:0xf bank_mask:0xf// 0000000099F4: 0BBFBEFA FF01530D
	v_mul_f32_e32 v220, v21, v220                              // 0000000099FC: 0BB9B915
	v_mul_f32_e32 v221, v21, v221                              // 000000009A00: 0BBBBB15
	v_mul_f32_e32 v222, v21, v222                              // 000000009A04: 0BBDBD15
	v_mul_f32_e32 v223, v21, v223                              // 000000009A08: 0BBFBF15
	v_cvt_f32_i32_e32 v224, v224                               // 000000009A0C: 7FC00BE0
	v_cvt_f32_i32_e32 v225, v225                               // 000000009A10: 7FC20BE1
	v_cvt_f32_i32_e32 v226, v226                               // 000000009A14: 7FC40BE2
	v_cvt_f32_i32_e32 v227, v227                               // 000000009A18: 7FC60BE3
	v_mul_f32_e32 v224, v24, v224                              // 000000009A1C: 0BC1C118
	v_mul_f32_e32 v225, v24, v225                              // 000000009A20: 0BC3C318
	v_mul_f32_e32 v226, v24, v226                              // 000000009A24: 0BC5C518
	v_mul_f32_e32 v227, v24, v227                              // 000000009A28: 0BC7C718
	v_mul_f32_dpp v224, v13, v224 row_newbcast:4 row_mask:0xf bank_mask:0xf// 000000009A2C: 0BC1C0FA FF01540D
	v_mul_f32_dpp v225, v13, v225 row_newbcast:5 row_mask:0xf bank_mask:0xf// 000000009A34: 0BC3C2FA FF01550D
	v_mul_f32_dpp v226, v13, v226 row_newbcast:6 row_mask:0xf bank_mask:0xf// 000000009A3C: 0BC5C4FA FF01560D
	v_mul_f32_dpp v227, v13, v227 row_newbcast:7 row_mask:0xf bank_mask:0xf// 000000009A44: 0BC7C6FA FF01570D
	v_mul_f32_e32 v224, v20, v224                              // 000000009A4C: 0BC1C114
	v_mul_f32_e32 v225, v20, v225                              // 000000009A50: 0BC3C314
	v_mul_f32_e32 v226, v20, v226                              // 000000009A54: 0BC5C514
	v_mul_f32_e32 v227, v20, v227                              // 000000009A58: 0BC7C714
	v_cvt_f32_i32_e32 v228, v228                               // 000000009A5C: 7FC80BE4
	v_cvt_f32_i32_e32 v229, v229                               // 000000009A60: 7FCA0BE5
	v_cvt_f32_i32_e32 v230, v230                               // 000000009A64: 7FCC0BE6
	v_cvt_f32_i32_e32 v231, v231                               // 000000009A68: 7FCE0BE7
	v_mul_f32_e32 v228, v25, v228                              // 000000009A6C: 0BC9C919
	v_mul_f32_e32 v229, v25, v229                              // 000000009A70: 0BCBCB19
	v_mul_f32_e32 v230, v25, v230                              // 000000009A74: 0BCDCD19
	v_mul_f32_e32 v231, v25, v231                              // 000000009A78: 0BCFCF19
	v_mul_f32_dpp v228, v13, v228 row_newbcast:4 row_mask:0xf bank_mask:0xf// 000000009A7C: 0BC9C8FA FF01540D
	v_mul_f32_dpp v229, v13, v229 row_newbcast:5 row_mask:0xf bank_mask:0xf// 000000009A84: 0BCBCAFA FF01550D
	v_mul_f32_dpp v230, v13, v230 row_newbcast:6 row_mask:0xf bank_mask:0xf// 000000009A8C: 0BCDCCFA FF01560D
	v_mul_f32_dpp v231, v13, v231 row_newbcast:7 row_mask:0xf bank_mask:0xf// 000000009A94: 0BCFCEFA FF01570D
	v_mul_f32_e32 v228, v21, v228                              // 000000009A9C: 0BC9C915
	v_mul_f32_e32 v229, v21, v229                              // 000000009AA0: 0BCBCB15
	v_mul_f32_e32 v230, v21, v230                              // 000000009AA4: 0BCDCD15
	v_mul_f32_e32 v231, v21, v231                              // 000000009AA8: 0BCFCF15
	v_cvt_f32_i32_e32 v232, v232                               // 000000009AAC: 7FD00BE8
	v_cvt_f32_i32_e32 v233, v233                               // 000000009AB0: 7FD20BE9
	v_cvt_f32_i32_e32 v234, v234                               // 000000009AB4: 7FD40BEA
	v_cvt_f32_i32_e32 v235, v235                               // 000000009AB8: 7FD60BEB
	v_mul_f32_e32 v232, v24, v232                              // 000000009ABC: 0BD1D118
	v_mul_f32_e32 v233, v24, v233                              // 000000009AC0: 0BD3D318
	v_mul_f32_e32 v234, v24, v234                              // 000000009AC4: 0BD5D518
	v_mul_f32_e32 v235, v24, v235                              // 000000009AC8: 0BD7D718
	v_mul_f32_dpp v232, v13, v232 row_newbcast:8 row_mask:0xf bank_mask:0xf// 000000009ACC: 0BD1D0FA FF01580D
	v_mul_f32_dpp v233, v13, v233 row_newbcast:9 row_mask:0xf bank_mask:0xf// 000000009AD4: 0BD3D2FA FF01590D
	v_mul_f32_dpp v234, v13, v234 row_newbcast:10 row_mask:0xf bank_mask:0xf// 000000009ADC: 0BD5D4FA FF015A0D
	v_mul_f32_dpp v235, v13, v235 row_newbcast:11 row_mask:0xf bank_mask:0xf// 000000009AE4: 0BD7D6FA FF015B0D
	v_mul_f32_e32 v232, v20, v232                              // 000000009AEC: 0BD1D114
	v_mul_f32_e32 v233, v20, v233                              // 000000009AF0: 0BD3D314
	v_mul_f32_e32 v234, v20, v234                              // 000000009AF4: 0BD5D514
	v_mul_f32_e32 v235, v20, v235                              // 000000009AF8: 0BD7D714
	v_cvt_f32_i32_e32 v236, v236                               // 000000009AFC: 7FD80BEC
	v_cvt_f32_i32_e32 v237, v237                               // 000000009B00: 7FDA0BED
	v_cvt_f32_i32_e32 v238, v238                               // 000000009B04: 7FDC0BEE
	v_cvt_f32_i32_e32 v239, v239                               // 000000009B08: 7FDE0BEF
	v_mul_f32_e32 v236, v25, v236                              // 000000009B0C: 0BD9D919
	v_mul_f32_e32 v237, v25, v237                              // 000000009B10: 0BDBDB19
	v_mul_f32_e32 v238, v25, v238                              // 000000009B14: 0BDDDD19
	v_mul_f32_e32 v239, v25, v239                              // 000000009B18: 0BDFDF19
	v_mul_f32_dpp v236, v13, v236 row_newbcast:8 row_mask:0xf bank_mask:0xf// 000000009B1C: 0BD9D8FA FF01580D
	v_mul_f32_dpp v237, v13, v237 row_newbcast:9 row_mask:0xf bank_mask:0xf// 000000009B24: 0BDBDAFA FF01590D
	v_mul_f32_dpp v238, v13, v238 row_newbcast:10 row_mask:0xf bank_mask:0xf// 000000009B2C: 0BDDDCFA FF015A0D
	v_mul_f32_dpp v239, v13, v239 row_newbcast:11 row_mask:0xf bank_mask:0xf// 000000009B34: 0BDFDEFA FF015B0D
	v_mul_f32_e32 v236, v21, v236                              // 000000009B3C: 0BD9D915
	v_mul_f32_e32 v237, v21, v237                              // 000000009B40: 0BDBDB15
	v_mul_f32_e32 v238, v21, v238                              // 000000009B44: 0BDDDD15
	v_mul_f32_e32 v239, v21, v239                              // 000000009B48: 0BDFDF15
	v_cvt_f32_i32_e32 v240, v240                               // 000000009B4C: 7FE00BF0
	v_cvt_f32_i32_e32 v241, v241                               // 000000009B50: 7FE20BF1
	v_cvt_f32_i32_e32 v242, v242                               // 000000009B54: 7FE40BF2
	v_cvt_f32_i32_e32 v243, v243                               // 000000009B58: 7FE60BF3
	v_mul_f32_e32 v240, v24, v240                              // 000000009B5C: 0BE1E118
	v_mul_f32_e32 v241, v24, v241                              // 000000009B60: 0BE3E318
	v_mul_f32_e32 v242, v24, v242                              // 000000009B64: 0BE5E518
	v_mul_f32_e32 v243, v24, v243                              // 000000009B68: 0BE7E718
	v_mul_f32_dpp v240, v13, v240 row_newbcast:12 row_mask:0xf bank_mask:0xf// 000000009B6C: 0BE1E0FA FF015C0D
	v_mul_f32_dpp v241, v13, v241 row_newbcast:13 row_mask:0xf bank_mask:0xf// 000000009B74: 0BE3E2FA FF015D0D
	v_mul_f32_dpp v242, v13, v242 row_newbcast:14 row_mask:0xf bank_mask:0xf// 000000009B7C: 0BE5E4FA FF015E0D
	v_mul_f32_dpp v243, v13, v243 row_newbcast:15 row_mask:0xf bank_mask:0xf// 000000009B84: 0BE7E6FA FF015F0D
	v_mul_f32_e32 v240, v20, v240                              // 000000009B8C: 0BE1E114
	v_mul_f32_e32 v241, v20, v241                              // 000000009B90: 0BE3E314
	v_mul_f32_e32 v242, v20, v242                              // 000000009B94: 0BE5E514
	v_mul_f32_e32 v243, v20, v243                              // 000000009B98: 0BE7E714
	v_cvt_f32_i32_e32 v244, v244                               // 000000009B9C: 7FE80BF4
	v_cvt_f32_i32_e32 v245, v245                               // 000000009BA0: 7FEA0BF5
	v_cvt_f32_i32_e32 v246, v246                               // 000000009BA4: 7FEC0BF6
	v_cvt_f32_i32_e32 v247, v247                               // 000000009BA8: 7FEE0BF7
	v_mul_f32_e32 v244, v25, v244                              // 000000009BAC: 0BE9E919
	v_mul_f32_e32 v245, v25, v245                              // 000000009BB0: 0BEBEB19
	v_mul_f32_e32 v246, v25, v246                              // 000000009BB4: 0BEDED19
	v_mul_f32_e32 v247, v25, v247                              // 000000009BB8: 0BEFEF19
	v_mul_f32_dpp v244, v13, v244 row_newbcast:12 row_mask:0xf bank_mask:0xf// 000000009BBC: 0BE9E8FA FF015C0D
	v_mul_f32_dpp v245, v13, v245 row_newbcast:13 row_mask:0xf bank_mask:0xf// 000000009BC4: 0BEBEAFA FF015D0D
	v_mul_f32_dpp v246, v13, v246 row_newbcast:14 row_mask:0xf bank_mask:0xf// 000000009BCC: 0BEDECFA FF015E0D
	v_mul_f32_dpp v247, v13, v247 row_newbcast:15 row_mask:0xf bank_mask:0xf// 000000009BD4: 0BEFEEFA FF015F0D
	v_mul_f32_e32 v244, v21, v244                              // 000000009BDC: 0BE9E915
	v_mul_f32_e32 v245, v21, v245                              // 000000009BE0: 0BEBEB15
	v_mul_f32_e32 v246, v21, v246                              // 000000009BE4: 0BEDED15
	v_mul_f32_e32 v247, v21, v247                              // 000000009BE8: 0BEFEF15
	v_cvt_pkrtz_f16_f32 v216, v216, v217                       // 000000009BEC: D29600D8 0003B3D8
	v_cvt_pkrtz_f16_f32 v217, v218, v219                       // 000000009BF4: D29600D9 0003B7DA
	v_cvt_pkrtz_f16_f32 v218, v220, v221                       // 000000009BFC: D29600DA 0003BBDC
	v_cvt_pkrtz_f16_f32 v219, v222, v223                       // 000000009C04: D29600DB 0003BFDE
	v_cvt_pkrtz_f16_f32 v220, v224, v225                       // 000000009C0C: D29600DC 0003C3E0
	v_cvt_pkrtz_f16_f32 v221, v226, v227                       // 000000009C14: D29600DD 0003C7E2
	v_cvt_pkrtz_f16_f32 v222, v228, v229                       // 000000009C1C: D29600DE 0003CBE4
	v_cvt_pkrtz_f16_f32 v223, v230, v231                       // 000000009C24: D29600DF 0003CFE6
	v_cvt_pkrtz_f16_f32 v224, v232, v233                       // 000000009C2C: D29600E0 0003D3E8
	v_cvt_pkrtz_f16_f32 v225, v234, v235                       // 000000009C34: D29600E1 0003D7EA
	v_cvt_pkrtz_f16_f32 v226, v236, v237                       // 000000009C3C: D29600E2 0003DBEC
	v_cvt_pkrtz_f16_f32 v227, v238, v239                       // 000000009C44: D29600E3 0003DFEE
	v_cvt_pkrtz_f16_f32 v228, v240, v241                       // 000000009C4C: D29600E4 0003E3F0
	v_cvt_pkrtz_f16_f32 v229, v242, v243                       // 000000009C54: D29600E5 0003E7F2
	v_cvt_pkrtz_f16_f32 v230, v244, v245                       // 000000009C5C: D29600E6 0003EBF4
	v_cvt_pkrtz_f16_f32 v231, v246, v247                       // 000000009C64: D29600E7 0003EFF6
	ds_write_b64 v3, v[216:217] offset:33024                   // 000000009C6C: D89A8100 0000D803
	ds_write_b64 v3, v[218:219] offset:41728                   // 000000009C74: D89AA300 0000DA03
	ds_write_b64 v3, v[220:221] offset:35200                   // 000000009C7C: D89A8980 0000DC03
	ds_write_b64 v3, v[222:223] offset:43904                   // 000000009C84: D89AAB80 0000DE03
	ds_write_b64 v3, v[224:225] offset:37376                   // 000000009C8C: D89A9200 0000E003
	ds_write_b64 v3, v[226:227] offset:46080                   // 000000009C94: D89AB400 0000E203
	ds_write_b64 v3, v[228:229] offset:39552                   // 000000009C9C: D89A9A80 0000E403
	ds_write_b64 v3, v[230:231] offset:48256                   // 000000009CA4: D89ABC80 0000E603
	s_waitcnt lgkmcnt(0)                                       // 000000009CAC: BF8CC07F
	s_barrier                                                  // 000000009CB0: BF8A0000
	ds_read_b32 v64, v4 offset:33024                           // 000000009CB4: D86C8100 40000004
	ds_read_b32 v65, v4 offset:37376                           // 000000009CBC: D86C9200 41000004
	ds_read_b32 v66, v4 offset:33056                           // 000000009CC4: D86C8120 42000004
	ds_read_b32 v67, v4 offset:37408                           // 000000009CCC: D86C9220 43000004
	ds_read_b32 v68, v4 offset:33088                           // 000000009CD4: D86C8140 44000004
	ds_read_b32 v69, v4 offset:37440                           // 000000009CDC: D86C9240 45000004
	ds_read_b32 v70, v4 offset:33120                           // 000000009CE4: D86C8160 46000004
	ds_read_b32 v71, v4 offset:37472                           // 000000009CEC: D86C9260 47000004
	ds_read_b32 v72, v4 offset:41728                           // 000000009CF4: D86CA300 48000004
	ds_read_b32 v73, v4 offset:46080                           // 000000009CFC: D86CB400 49000004
	ds_read_b32 v74, v4 offset:41760                           // 000000009D04: D86CA320 4A000004
	ds_read_b32 v75, v4 offset:46112                           // 000000009D0C: D86CB420 4B000004
	ds_read_b32 v76, v4 offset:41792                           // 000000009D14: D86CA340 4C000004
	ds_read_b32 v77, v4 offset:46144                           // 000000009D1C: D86CB440 4D000004
	ds_read_b32 v78, v4 offset:41824                           // 000000009D24: D86CA360 4E000004
	ds_read_b32 v79, v4 offset:46176                           // 000000009D2C: D86CB460 4F000004
	s_waitcnt lgkmcnt(0)                                       // 000000009D34: BF8CC07F
	s_mov_b64 exec, s[20:21]                                   // 000000009D38: BEFE0114
	global_atomic_pk_add_f16 v80, v64, s[8:9]                  // 000000009D3C: DD388000 00084050
	s_mov_b64 exec, s[36:37]                                   // 000000009D44: BEFE0124
	s_mov_b64 exec, s[20:21]                                   // 000000009D48: BEFE0114
	global_atomic_pk_add_f16 v80, v65, s[8:9] offset:256       // 000000009D4C: DD388100 00084150
	s_mov_b64 exec, s[36:37]                                   // 000000009D54: BEFE0124
	s_mov_b64 exec, s[22:23]                                   // 000000009D58: BEFE0116
	global_atomic_pk_add_f16 v82, v66, s[8:9]                  // 000000009D5C: DD388000 00084252
	s_mov_b64 exec, s[36:37]                                   // 000000009D64: BEFE0124
	s_mov_b64 exec, s[22:23]                                   // 000000009D68: BEFE0116
	global_atomic_pk_add_f16 v82, v67, s[8:9] offset:256       // 000000009D6C: DD388100 00084352
	s_mov_b64 exec, s[36:37]                                   // 000000009D74: BEFE0124
	s_mov_b64 exec, s[24:25]                                   // 000000009D78: BEFE0118
	global_atomic_pk_add_f16 v84, v68, s[8:9]                  // 000000009D7C: DD388000 00084454
	s_mov_b64 exec, s[36:37]                                   // 000000009D84: BEFE0124
	s_mov_b64 exec, s[24:25]                                   // 000000009D88: BEFE0118
	global_atomic_pk_add_f16 v84, v69, s[8:9] offset:256       // 000000009D8C: DD388100 00084554
	s_mov_b64 exec, s[36:37]                                   // 000000009D94: BEFE0124
	s_mov_b64 exec, s[26:27]                                   // 000000009D98: BEFE011A
	global_atomic_pk_add_f16 v86, v70, s[8:9]                  // 000000009D9C: DD388000 00084656
	s_mov_b64 exec, s[36:37]                                   // 000000009DA4: BEFE0124
	s_mov_b64 exec, s[26:27]                                   // 000000009DA8: BEFE011A
	global_atomic_pk_add_f16 v86, v71, s[8:9] offset:256       // 000000009DAC: DD388100 00084756
	s_mov_b64 exec, s[36:37]                                   // 000000009DB4: BEFE0124
	s_mov_b64 exec, s[28:29]                                   // 000000009DB8: BEFE011C
	global_atomic_pk_add_f16 v88, v72, s[8:9]                  // 000000009DBC: DD388000 00084858
	s_mov_b64 exec, s[36:37]                                   // 000000009DC4: BEFE0124
	s_mov_b64 exec, s[28:29]                                   // 000000009DC8: BEFE011C
	global_atomic_pk_add_f16 v88, v73, s[8:9] offset:256       // 000000009DCC: DD388100 00084958
	s_mov_b64 exec, s[36:37]                                   // 000000009DD4: BEFE0124
	s_mov_b64 exec, s[30:31]                                   // 000000009DD8: BEFE011E
	global_atomic_pk_add_f16 v90, v74, s[8:9]                  // 000000009DDC: DD388000 00084A5A
	s_mov_b64 exec, s[36:37]                                   // 000000009DE4: BEFE0124
	s_mov_b64 exec, s[30:31]                                   // 000000009DE8: BEFE011E
	global_atomic_pk_add_f16 v90, v75, s[8:9] offset:256       // 000000009DEC: DD388100 00084B5A
	s_mov_b64 exec, s[36:37]                                   // 000000009DF4: BEFE0124
	s_mov_b64 exec, s[32:33]                                   // 000000009DF8: BEFE0120
	global_atomic_pk_add_f16 v92, v76, s[8:9]                  // 000000009DFC: DD388000 00084C5C
	s_mov_b64 exec, s[36:37]                                   // 000000009E04: BEFE0124
	s_mov_b64 exec, s[32:33]                                   // 000000009E08: BEFE0120
	global_atomic_pk_add_f16 v92, v77, s[8:9] offset:256       // 000000009E0C: DD388100 00084D5C
	s_mov_b64 exec, s[36:37]                                   // 000000009E14: BEFE0124
	s_mov_b64 exec, s[34:35]                                   // 000000009E18: BEFE0122
	global_atomic_pk_add_f16 v94, v78, s[8:9]                  // 000000009E1C: DD388000 00084E5E
	s_mov_b64 exec, s[36:37]                                   // 000000009E24: BEFE0124
	s_mov_b64 exec, s[34:35]                                   // 000000009E28: BEFE0122
	global_atomic_pk_add_f16 v94, v79, s[8:9] offset:256       // 000000009E2C: DD388100 00084F5E
	s_mov_b64 exec, s[36:37]                                   // 000000009E34: BEFE0124
	s_add_u32 s8, s59, s8                                      // 000000009E38: 8008083B
	s_addc_u32 s9, 0, s9                                       // 000000009E3C: 82090980
	s_addk_i32 s80, 0x100                                      // 000000009E40: B7500100
	s_cmp_lt_i32 s80, s81                                      // 000000009E44: BF045150
	s_cbranch_scc0 label_0F7B                                  // 000000009E48: BF84F368
	s_branch label_1733                                        // 000000009E4C: BF82FB1F

0000000000009e50 <label_1C14>:
	s_waitcnt vmcnt(0) expcnt(0) lgkmcnt(0)                    // 000000009E50: BF8C0000
	s_add_u32 s100, s100, 1                                    // 000000009E54: 80648164
	s_cmp_eq_u32 s96, 0                                        // 000000009E58: BF068060
	s_cbranch_scc0 label_0039                                  // 000000009E5C: BF84E421

0000000000009e60 <label_1C18>:
	s_waitcnt vmcnt(0) expcnt(0) lgkmcnt(0)                    // 000000009E60: BF8C0000
	s_endpgm                                                   // 000000009E64: BF810000
